;; amdgpu-corpus repo=ROCm/rocFFT kind=compiled arch=gfx950 opt=O3
	.text
	.amdgcn_target "amdgcn-amd-amdhsa--gfx950"
	.amdhsa_code_object_version 6
	.protected	fft_rtc_fwd_len1920_factors_10_6_16_2_wgs_240_tpt_120_halfLds_sp_op_CI_CI_unitstride_sbrr_C2R_dirReg ; -- Begin function fft_rtc_fwd_len1920_factors_10_6_16_2_wgs_240_tpt_120_halfLds_sp_op_CI_CI_unitstride_sbrr_C2R_dirReg
	.globl	fft_rtc_fwd_len1920_factors_10_6_16_2_wgs_240_tpt_120_halfLds_sp_op_CI_CI_unitstride_sbrr_C2R_dirReg
	.p2align	8
	.type	fft_rtc_fwd_len1920_factors_10_6_16_2_wgs_240_tpt_120_halfLds_sp_op_CI_CI_unitstride_sbrr_C2R_dirReg,@function
fft_rtc_fwd_len1920_factors_10_6_16_2_wgs_240_tpt_120_halfLds_sp_op_CI_CI_unitstride_sbrr_C2R_dirReg: ; @fft_rtc_fwd_len1920_factors_10_6_16_2_wgs_240_tpt_120_halfLds_sp_op_CI_CI_unitstride_sbrr_C2R_dirReg
; %bb.0:
	s_load_dwordx4 s[4:7], s[0:1], 0x58
	s_load_dwordx4 s[8:11], s[0:1], 0x0
	;; [unrolled: 1-line block ×3, first 2 shown]
	v_mul_u32_u24_e32 v1, 0x223, v0
	v_lshrrev_b32_e32 v1, 16, v1
	v_lshl_add_u32 v6, s2, 1, v1
	v_mov_b32_e32 v4, 0
	s_waitcnt lgkmcnt(0)
	v_cmp_lt_u64_e64 s[2:3], s[10:11], 2
	v_mov_b32_e32 v7, v4
	s_and_b64 vcc, exec, s[2:3]
	v_mov_b64_e32 v[2:3], 0
	s_cbranch_vccnz .LBB0_8
; %bb.1:
	s_load_dwordx2 s[2:3], s[0:1], 0x10
	s_add_u32 s16, s14, 8
	s_addc_u32 s17, s15, 0
	s_add_u32 s18, s12, 8
	s_addc_u32 s19, s13, 0
	s_waitcnt lgkmcnt(0)
	s_add_u32 s20, s2, 8
	v_mov_b64_e32 v[2:3], 0
	s_addc_u32 s21, s3, 0
	s_mov_b64 s[22:23], 1
	v_mov_b64_e32 v[32:33], v[2:3]
.LBB0_2:                                ; =>This Inner Loop Header: Depth=1
	s_load_dwordx2 s[24:25], s[20:21], 0x0
                                        ; implicit-def: $vgpr34_vgpr35
	s_waitcnt lgkmcnt(0)
	v_or_b32_e32 v5, s25, v7
	v_cmp_ne_u64_e32 vcc, 0, v[4:5]
	s_and_saveexec_b64 s[2:3], vcc
	s_xor_b64 s[26:27], exec, s[2:3]
	s_cbranch_execz .LBB0_4
; %bb.3:                                ;   in Loop: Header=BB0_2 Depth=1
	v_cvt_f32_u32_e32 v5, s24
	v_cvt_f32_u32_e32 v8, s25
	s_sub_u32 s2, 0, s24
	s_subb_u32 s3, 0, s25
	v_fmac_f32_e32 v5, 0x4f800000, v8
	v_rcp_f32_e32 v5, v5
	s_nop 0
	v_mul_f32_e32 v5, 0x5f7ffffc, v5
	v_mul_f32_e32 v8, 0x2f800000, v5
	v_trunc_f32_e32 v8, v8
	v_fmac_f32_e32 v5, 0xcf800000, v8
	v_cvt_u32_f32_e32 v12, v8
	v_cvt_u32_f32_e32 v5, v5
	v_mul_lo_u32 v8, s2, v12
	v_mul_hi_u32 v10, s2, v5
	v_mul_lo_u32 v9, s3, v5
	v_add_u32_e32 v10, v10, v8
	v_mul_lo_u32 v13, s2, v5
	v_add_u32_e32 v14, v10, v9
	v_mul_hi_u32 v8, v5, v13
	v_mul_hi_u32 v11, v5, v14
	v_mul_lo_u32 v10, v5, v14
	v_mov_b32_e32 v9, v4
	v_lshl_add_u64 v[8:9], v[8:9], 0, v[10:11]
	v_mul_hi_u32 v11, v12, v13
	v_mul_lo_u32 v13, v12, v13
	v_add_co_u32_e32 v8, vcc, v8, v13
	v_mul_hi_u32 v10, v12, v14
	s_nop 0
	v_addc_co_u32_e32 v8, vcc, v9, v11, vcc
	v_mov_b32_e32 v9, v4
	s_nop 0
	v_addc_co_u32_e32 v11, vcc, 0, v10, vcc
	v_mul_lo_u32 v10, v12, v14
	v_lshl_add_u64 v[8:9], v[8:9], 0, v[10:11]
	v_add_co_u32_e32 v5, vcc, v5, v8
	v_mul_lo_u32 v10, s2, v5
	s_nop 0
	v_addc_co_u32_e32 v12, vcc, v12, v9, vcc
	v_mul_lo_u32 v8, s2, v12
	v_mul_hi_u32 v9, s2, v5
	v_add_u32_e32 v8, v9, v8
	v_mul_lo_u32 v9, s3, v5
	v_add_u32_e32 v13, v8, v9
	v_mul_hi_u32 v15, v12, v10
	v_mul_lo_u32 v16, v12, v10
	v_mul_hi_u32 v9, v5, v13
	v_mul_lo_u32 v8, v5, v13
	v_mul_hi_u32 v10, v5, v10
	v_mov_b32_e32 v11, v4
	v_lshl_add_u64 v[8:9], v[10:11], 0, v[8:9]
	v_add_co_u32_e32 v8, vcc, v8, v16
	v_mul_hi_u32 v14, v12, v13
	s_nop 0
	v_addc_co_u32_e32 v8, vcc, v9, v15, vcc
	v_mul_lo_u32 v10, v12, v13
	s_nop 0
	v_addc_co_u32_e32 v11, vcc, 0, v14, vcc
	v_mov_b32_e32 v9, v4
	v_lshl_add_u64 v[8:9], v[8:9], 0, v[10:11]
	v_add_co_u32_e32 v5, vcc, v5, v8
	v_mul_hi_u32 v10, v6, v5
	s_nop 0
	v_addc_co_u32_e32 v12, vcc, v12, v9, vcc
	v_mad_u64_u32 v[8:9], s[2:3], v6, v12, 0
	v_mov_b32_e32 v11, v4
	v_lshl_add_u64 v[8:9], v[10:11], 0, v[8:9]
	v_mad_u64_u32 v[10:11], s[2:3], v7, v12, 0
	v_mad_u64_u32 v[12:13], s[2:3], v7, v5, 0
	v_add_co_u32_e32 v5, vcc, v8, v12
	s_nop 1
	v_addc_co_u32_e32 v8, vcc, v9, v13, vcc
	v_mov_b32_e32 v9, v4
	s_nop 0
	v_addc_co_u32_e32 v11, vcc, 0, v11, vcc
	v_lshl_add_u64 v[8:9], v[8:9], 0, v[10:11]
	v_mul_lo_u32 v5, s25, v8
	v_mul_lo_u32 v12, s24, v9
	v_mad_u64_u32 v[10:11], s[2:3], s24, v8, 0
	v_add3_u32 v5, v11, v12, v5
	v_sub_u32_e32 v11, v7, v5
	v_mov_b32_e32 v12, s25
	v_sub_co_u32_e32 v14, vcc, v6, v10
	s_nop 1
	v_subb_co_u32_e64 v10, s[2:3], v11, v12, vcc
	v_subrev_co_u32_e64 v11, s[2:3], s24, v14
	v_subb_co_u32_e32 v5, vcc, v7, v5, vcc
	s_nop 0
	v_subbrev_co_u32_e64 v10, s[2:3], 0, v10, s[2:3]
	v_cmp_le_u32_e64 s[2:3], s25, v10
	v_cmp_le_u32_e32 vcc, s25, v5
	s_nop 0
	v_cndmask_b32_e64 v12, 0, -1, s[2:3]
	v_cmp_le_u32_e64 s[2:3], s24, v11
	s_nop 1
	v_cndmask_b32_e64 v11, 0, -1, s[2:3]
	v_cmp_eq_u32_e64 s[2:3], s25, v10
	s_nop 1
	v_cndmask_b32_e64 v15, v12, v11, s[2:3]
	v_lshl_add_u64 v[10:11], v[8:9], 0, 2
	v_lshl_add_u64 v[12:13], v[8:9], 0, 1
	v_cmp_ne_u32_e64 s[2:3], 0, v15
	s_nop 1
	v_cndmask_b32_e64 v11, v13, v11, s[2:3]
	v_cndmask_b32_e64 v13, 0, -1, vcc
	v_cmp_le_u32_e32 vcc, s24, v14
	s_nop 1
	v_cndmask_b32_e64 v14, 0, -1, vcc
	v_cmp_eq_u32_e32 vcc, s25, v5
	s_nop 1
	v_cndmask_b32_e32 v5, v13, v14, vcc
	v_cmp_ne_u32_e32 vcc, 0, v5
	v_cndmask_b32_e64 v5, v12, v10, s[2:3]
	s_nop 0
	v_cndmask_b32_e32 v35, v9, v11, vcc
	v_cndmask_b32_e32 v34, v8, v5, vcc
.LBB0_4:                                ;   in Loop: Header=BB0_2 Depth=1
	s_andn2_saveexec_b64 s[2:3], s[26:27]
	s_cbranch_execz .LBB0_6
; %bb.5:                                ;   in Loop: Header=BB0_2 Depth=1
	v_cvt_f32_u32_e32 v5, s24
	s_sub_i32 s26, 0, s24
	v_mov_b32_e32 v35, v4
	v_rcp_iflag_f32_e32 v5, v5
	s_nop 0
	v_mul_f32_e32 v5, 0x4f7ffffe, v5
	v_cvt_u32_f32_e32 v5, v5
	v_mul_lo_u32 v8, s26, v5
	v_mul_hi_u32 v8, v5, v8
	v_add_u32_e32 v5, v5, v8
	v_mul_hi_u32 v5, v6, v5
	v_mul_lo_u32 v8, v5, s24
	v_sub_u32_e32 v8, v6, v8
	v_add_u32_e32 v9, 1, v5
	v_subrev_u32_e32 v10, s24, v8
	v_cmp_le_u32_e32 vcc, s24, v8
	s_nop 1
	v_cndmask_b32_e32 v8, v8, v10, vcc
	v_cndmask_b32_e32 v5, v5, v9, vcc
	v_add_u32_e32 v9, 1, v5
	v_cmp_le_u32_e32 vcc, s24, v8
	s_nop 1
	v_cndmask_b32_e32 v34, v5, v9, vcc
.LBB0_6:                                ;   in Loop: Header=BB0_2 Depth=1
	s_or_b64 exec, exec, s[2:3]
	v_mad_u64_u32 v[8:9], s[2:3], v34, s24, 0
	s_load_dwordx2 s[2:3], s[18:19], 0x0
	v_mul_lo_u32 v5, v35, s24
	v_mul_lo_u32 v10, v34, s25
	s_load_dwordx2 s[24:25], s[16:17], 0x0
	s_add_u32 s22, s22, 1
	v_add3_u32 v5, v9, v10, v5
	v_sub_co_u32_e32 v6, vcc, v6, v8
	s_addc_u32 s23, s23, 0
	s_nop 0
	v_subb_co_u32_e32 v5, vcc, v7, v5, vcc
	s_add_u32 s16, s16, 8
	s_waitcnt lgkmcnt(0)
	v_mul_lo_u32 v7, s2, v5
	v_mul_lo_u32 v8, s3, v6
	v_mad_u64_u32 v[2:3], s[2:3], s2, v6, v[2:3]
	s_addc_u32 s17, s17, 0
	v_add3_u32 v3, v8, v3, v7
	v_mul_lo_u32 v5, s24, v5
	v_mul_lo_u32 v7, s25, v6
	v_mad_u64_u32 v[32:33], s[2:3], s24, v6, v[32:33]
	s_add_u32 s18, s18, 8
	v_add3_u32 v33, v7, v33, v5
	s_addc_u32 s19, s19, 0
	v_mov_b64_e32 v[6:7], s[10:11]
	s_add_u32 s20, s20, 8
	v_cmp_ge_u64_e32 vcc, s[22:23], v[6:7]
	s_addc_u32 s21, s21, 0
	s_cbranch_vccnz .LBB0_9
; %bb.7:                                ;   in Loop: Header=BB0_2 Depth=1
	v_mov_b64_e32 v[6:7], v[34:35]
	s_branch .LBB0_2
.LBB0_8:
	v_mov_b64_e32 v[32:33], v[2:3]
	v_mov_b64_e32 v[34:35], v[6:7]
.LBB0_9:
	s_load_dwordx2 s[2:3], s[0:1], 0x28
	s_lshl_b64 s[16:17], s[10:11], 3
	s_add_u32 s14, s14, s16
	v_and_b32_e32 v1, 1, v1
	s_addc_u32 s15, s15, s17
	v_cmp_eq_u32_e32 vcc, 1, v1
	v_mov_b32_e32 v1, 0x781
	s_waitcnt lgkmcnt(0)
	v_cmp_gt_u64_e64 s[0:1], s[2:3], v[34:35]
	v_cmp_le_u64_e64 s[2:3], s[2:3], v[34:35]
                                        ; implicit-def: $vgpr36
                                        ; implicit-def: $vgpr38_vgpr39
	s_and_saveexec_b64 s[10:11], s[2:3]
	s_xor_b64 s[2:3], exec, s[10:11]
; %bb.10:
	s_mov_b32 s10, 0x2222223
	v_mul_hi_u32 v2, v0, s10
	v_mul_u32_u24_e32 v2, 0x78, v2
	v_sub_u32_e32 v36, v0, v2
	v_mov_b32_e32 v37, 0
	v_mov_b64_e32 v[38:39], v[36:37]
                                        ; implicit-def: $vgpr0
                                        ; implicit-def: $vgpr2_vgpr3
; %bb.11:
	s_or_saveexec_b64 s[10:11], s[2:3]
	s_load_dwordx2 s[2:3], s[14:15], 0x0
	v_cndmask_b32_e32 v30, 0, v1, vcc
	v_lshlrev_b32_e32 v46, 3, v30
	s_xor_b64 exec, exec, s[10:11]
	s_cbranch_execz .LBB0_15
; %bb.12:
	s_add_u32 s12, s12, s16
	s_addc_u32 s13, s13, s17
	s_load_dwordx2 s[12:13], s[12:13], 0x0
	s_mov_b32 s14, 0x2222223
	v_mov_b32_e32 v37, 0
	s_waitcnt lgkmcnt(0)
	v_mul_lo_u32 v1, s13, v34
	v_mul_lo_u32 v6, s12, v35
	v_mad_u64_u32 v[4:5], s[12:13], s12, v34, 0
	v_add3_u32 v5, v5, v6, v1
	v_mul_hi_u32 v1, v0, s14
	v_mul_u32_u24_e32 v1, 0x78, v1
	v_sub_u32_e32 v36, v0, v1
	v_lshl_add_u64 v[0:1], v[4:5], 3, s[4:5]
	v_lshl_add_u64 v[0:1], v[2:3], 3, v[0:1]
	v_lshlrev_b32_e32 v2, 3, v36
	v_mov_b32_e32 v3, v37
	v_lshl_add_u64 v[4:5], v[0:1], 0, v[2:3]
	s_movk_i32 s4, 0x1000
	v_add_co_u32_e32 v14, vcc, s4, v4
	s_movk_i32 s4, 0x2000
	s_nop 0
	v_addc_co_u32_e32 v15, vcc, 0, v5, vcc
	v_add_co_u32_e32 v24, vcc, s4, v4
	global_load_dwordx2 v[6:7], v[4:5], off
	global_load_dwordx2 v[8:9], v[4:5], off offset:960
	global_load_dwordx2 v[10:11], v[4:5], off offset:1920
	;; [unrolled: 1-line block ×3, first 2 shown]
	v_addc_co_u32_e32 v25, vcc, 0, v5, vcc
	global_load_dwordx2 v[16:17], v[4:5], off offset:3840
	global_load_dwordx2 v[18:19], v[14:15], off offset:704
	;; [unrolled: 1-line block ×4, first 2 shown]
	v_add_co_u32_e32 v4, vcc, 0x3000, v4
	global_load_dwordx2 v[26:27], v[14:15], off offset:3584
	global_load_dwordx2 v[28:29], v[24:25], off offset:448
	;; [unrolled: 1-line block ×4, first 2 shown]
	v_addc_co_u32_e32 v5, vcc, 0, v5, vcc
	global_load_dwordx2 v[14:15], v[24:25], off offset:3328
	global_load_dwordx2 v[42:43], v[4:5], off offset:192
	;; [unrolled: 1-line block ×4, first 2 shown]
	s_movk_i32 s4, 0x77
	v_add3_u32 v2, 0, v46, v2
	v_cmp_eq_u32_e32 vcc, s4, v36
	v_add_u32_e32 v3, 0x400, v2
	v_add_u32_e32 v4, 0xc00, v2
	;; [unrolled: 1-line block ×7, first 2 shown]
	s_waitcnt vmcnt(14)
	ds_write2_b64 v2, v[6:7], v[8:9] offset1:120
	s_waitcnt vmcnt(12)
	ds_write2_b64 v3, v[10:11], v[12:13] offset0:112 offset1:232
	s_waitcnt vmcnt(10)
	ds_write2_b64 v4, v[16:17], v[18:19] offset0:96 offset1:216
	;; [unrolled: 2-line block ×7, first 2 shown]
	v_mov_b64_e32 v[38:39], v[36:37]
	s_and_saveexec_b64 s[4:5], vcc
	s_cbranch_execz .LBB0_14
; %bb.13:
	v_add_co_u32_e32 v0, vcc, 0x3000, v0
	v_mov_b32_e32 v36, 0x77
	s_nop 0
	v_addc_co_u32_e32 v1, vcc, 0, v1, vcc
	global_load_dwordx2 v[0:1], v[0:1], off offset:3072
	v_mov_b64_e32 v[38:39], 0x77
	s_waitcnt vmcnt(0)
	ds_write_b64 v2, v[0:1] offset:14408
.LBB0_14:
	s_or_b64 exec, exec, s[4:5]
.LBB0_15:
	s_or_b64 exec, exec, s[10:11]
	v_lshl_add_u32 v44, v30, 3, 0
	v_lshlrev_b32_e32 v0, 3, v36
	v_add_u32_e32 v45, v44, v0
	s_waitcnt lgkmcnt(0)
	s_barrier
	v_sub_u32_e32 v2, v44, v0
	ds_read_b32 v1, v45
	ds_read_b32 v3, v2 offset:15360
	s_add_u32 s4, s8, 0x3bb0
	s_addc_u32 s5, s9, 0
	v_cmp_ne_u32_e32 vcc, 0, v36
	s_waitcnt lgkmcnt(0)
	v_add_f32_e32 v0, v3, v1
	v_sub_f32_e32 v1, v1, v3
	s_and_saveexec_b64 s[10:11], vcc
	s_xor_b64 s[10:11], exec, s[10:11]
	s_cbranch_execz .LBB0_17
; %bb.16:
	v_lshl_add_u64 v[4:5], v[38:39], 3, s[4:5]
	global_load_dwordx2 v[4:5], v[4:5], off
	ds_read_b32 v3, v2 offset:15364
	ds_read_b32 v9, v45 offset:4
	v_mov_b32_e32 v6, v1
	v_mov_b32_e32 v8, v0
	;; [unrolled: 1-line block ×3, first 2 shown]
	s_waitcnt lgkmcnt(0)
	v_add_f32_e32 v7, v3, v9
	v_sub_f32_e32 v9, v9, v3
	v_mov_b32_e32 v10, v7
	s_waitcnt vmcnt(0)
	v_pk_mul_f32 v[12:13], v[6:7], v[4:5] op_sel:[0,1]
	v_pk_fma_f32 v[6:7], v[6:7], v[4:5], v[8:9] op_sel:[0,1,0]
	v_mov_b32_e32 v1, v13
	v_mov_b32_e32 v13, v9
	v_pk_fma_f32 v[14:15], v[4:5], v[10:11], v[6:7] neg_lo:[1,0,0] neg_hi:[1,0,0]
	v_pk_fma_f32 v[6:7], v[4:5], v[10:11], v[6:7] op_sel_hi:[0,1,1]
	v_pk_add_f32 v[0:1], v[0:1], v[12:13] neg_lo:[0,1] neg_hi:[0,1]
	v_mov_b32_e32 v15, v7
	v_pk_fma_f32 v[0:1], v[4:5], v[10:11], v[0:1] op_sel_hi:[0,1,1]
	ds_write_b64 v2, v[0:1] offset:15360
	v_mov_b64_e32 v[0:1], v[14:15]
.LBB0_17:
	s_andn2_saveexec_b64 s[10:11], s[10:11]
	s_cbranch_execz .LBB0_19
; %bb.18:
	ds_read_b64 v[4:5], v44 offset:7680
	s_mov_b32 s12, 2.0
	s_mov_b32 s13, -2.0
	s_waitcnt lgkmcnt(0)
	v_pk_mul_f32 v[4:5], v[4:5], s[12:13]
	ds_write_b64 v44, v[4:5] offset:7680
.LBB0_19:
	s_or_b64 exec, exec, s[10:11]
	v_mov_b32_e32 v37, 0
	v_lshl_add_u64 v[4:5], v[36:37], 3, s[4:5]
	global_load_dwordx2 v[6:7], v[4:5], off offset:960
	global_load_dwordx2 v[8:9], v[4:5], off offset:1920
	;; [unrolled: 1-line block ×3, first 2 shown]
	ds_write_b64 v45, v[0:1]
	global_load_dwordx2 v[0:1], v[4:5], off offset:3840
	s_movk_i32 s4, 0x1000
	v_add_co_u32_e32 v4, vcc, s4, v4
	ds_read_b64 v[12:13], v45 offset:960
	ds_read_b64 v[14:15], v2 offset:14400
	v_addc_co_u32_e32 v5, vcc, 0, v5, vcc
	global_load_dwordx2 v[16:17], v[4:5], off offset:704
	v_lshl_add_u32 v31, v36, 3, 0
	s_waitcnt lgkmcnt(0)
	v_pk_add_f32 v[18:19], v[12:13], v[14:15]
	v_pk_add_f32 v[12:13], v[12:13], v[14:15] neg_lo:[0,1] neg_hi:[0,1]
	v_mov_b32_e32 v14, v19
	v_mov_b32_e32 v15, v12
	;; [unrolled: 1-line block ×3, first 2 shown]
	v_add_u32_e32 v47, v31, v46
	v_add_u32_e32 v3, 0xc00, v47
	s_mov_b32 s12, 0x3f737871
	s_mov_b32 s4, 0x3f167918
	;; [unrolled: 1-line block ×9, first 2 shown]
	s_waitcnt vmcnt(4)
	v_pk_mul_f32 v[20:21], v[14:15], v[6:7] op_sel:[0,1]
	s_nop 0
	v_pk_add_f32 v[22:23], v[18:19], v[20:21] op_sel:[0,1] op_sel_hi:[1,0]
	v_mov_b32_e32 v19, v20
	v_mov_b32_e32 v12, v21
	v_pk_fma_f32 v[20:21], v[6:7], v[14:15], v[22:23] neg_lo:[1,0,0] neg_hi:[1,0,0]
	v_pk_fma_f32 v[22:23], v[6:7], v[14:15], v[22:23] op_sel_hi:[0,1,1]
	v_pk_add_f32 v[12:13], v[18:19], v[12:13] neg_lo:[0,1] neg_hi:[0,1]
	v_mov_b32_e32 v21, v23
	v_pk_fma_f32 v[6:7], v[6:7], v[14:15], v[12:13] op_sel_hi:[0,1,1]
	ds_write_b64 v45, v[20:21] offset:960
	ds_write_b64 v2, v[6:7] offset:14400
	ds_read_b64 v[6:7], v2 offset:13440
	ds_read_b64 v[12:13], v45 offset:1920
	global_load_dwordx2 v[14:15], v[4:5], off offset:1664
	s_waitcnt lgkmcnt(0)
	v_pk_add_f32 v[18:19], v[12:13], v[6:7]
	v_pk_add_f32 v[6:7], v[12:13], v[6:7] neg_lo:[0,1] neg_hi:[0,1]
	v_mov_b32_e32 v12, v19
	v_mov_b32_e32 v13, v6
	;; [unrolled: 1-line block ×3, first 2 shown]
	s_waitcnt vmcnt(4)
	v_pk_mul_f32 v[20:21], v[12:13], v[8:9] op_sel:[0,1]
	s_nop 0
	v_pk_add_f32 v[22:23], v[18:19], v[20:21] op_sel:[0,1] op_sel_hi:[1,0]
	v_mov_b32_e32 v19, v20
	v_mov_b32_e32 v6, v21
	v_pk_fma_f32 v[20:21], v[8:9], v[12:13], v[22:23] neg_lo:[1,0,0] neg_hi:[1,0,0]
	v_pk_fma_f32 v[22:23], v[8:9], v[12:13], v[22:23] op_sel_hi:[0,1,1]
	v_pk_add_f32 v[6:7], v[18:19], v[6:7] neg_lo:[0,1] neg_hi:[0,1]
	v_mov_b32_e32 v21, v23
	v_pk_fma_f32 v[6:7], v[8:9], v[12:13], v[6:7] op_sel_hi:[0,1,1]
	ds_write_b64 v45, v[20:21] offset:1920
	ds_write_b64 v2, v[6:7] offset:13440
	ds_read_b64 v[6:7], v2 offset:12480
	ds_read_b64 v[8:9], v45 offset:2880
	global_load_dwordx2 v[4:5], v[4:5], off offset:2624
	s_waitcnt lgkmcnt(0)
	v_pk_add_f32 v[12:13], v[8:9], v[6:7]
	v_pk_add_f32 v[6:7], v[8:9], v[6:7] neg_lo:[0,1] neg_hi:[0,1]
	v_mov_b32_e32 v8, v13
	v_mov_b32_e32 v9, v6
	v_mov_b32_e32 v13, v7
	s_waitcnt vmcnt(4)
	v_pk_mul_f32 v[18:19], v[8:9], v[10:11] op_sel:[0,1]
	s_nop 0
	v_pk_add_f32 v[20:21], v[12:13], v[18:19] op_sel:[0,1] op_sel_hi:[1,0]
	v_mov_b32_e32 v13, v18
	v_mov_b32_e32 v6, v19
	v_pk_fma_f32 v[18:19], v[10:11], v[8:9], v[20:21] neg_lo:[1,0,0] neg_hi:[1,0,0]
	v_pk_fma_f32 v[20:21], v[10:11], v[8:9], v[20:21] op_sel_hi:[0,1,1]
	v_pk_add_f32 v[6:7], v[12:13], v[6:7] neg_lo:[0,1] neg_hi:[0,1]
	v_mov_b32_e32 v19, v21
	v_pk_fma_f32 v[6:7], v[10:11], v[8:9], v[6:7] op_sel_hi:[0,1,1]
	ds_write_b64 v45, v[18:19] offset:2880
	ds_write_b64 v2, v[6:7] offset:12480
	ds_read_b64 v[6:7], v2 offset:11520
	ds_read_b64 v[8:9], v45 offset:3840
	s_waitcnt lgkmcnt(0)
	v_pk_add_f32 v[10:11], v[8:9], v[6:7]
	v_pk_add_f32 v[6:7], v[8:9], v[6:7] neg_lo:[0,1] neg_hi:[0,1]
	v_mov_b32_e32 v8, v11
	v_mov_b32_e32 v9, v6
	v_mov_b32_e32 v11, v7
	s_waitcnt vmcnt(3)
	v_pk_mul_f32 v[12:13], v[8:9], v[0:1] op_sel:[0,1]
	s_nop 0
	v_pk_add_f32 v[18:19], v[10:11], v[12:13] op_sel:[0,1] op_sel_hi:[1,0]
	v_mov_b32_e32 v11, v12
	v_mov_b32_e32 v6, v13
	v_pk_fma_f32 v[12:13], v[0:1], v[8:9], v[18:19] neg_lo:[1,0,0] neg_hi:[1,0,0]
	v_pk_fma_f32 v[18:19], v[0:1], v[8:9], v[18:19] op_sel_hi:[0,1,1]
	v_pk_add_f32 v[6:7], v[10:11], v[6:7] neg_lo:[0,1] neg_hi:[0,1]
	v_mov_b32_e32 v13, v19
	v_pk_fma_f32 v[0:1], v[0:1], v[8:9], v[6:7] op_sel_hi:[0,1,1]
	ds_write_b64 v45, v[12:13] offset:3840
	ds_write_b64 v2, v[0:1] offset:11520
	ds_read_b64 v[0:1], v2 offset:10560
	ds_read_b64 v[6:7], v45 offset:4800
	;; [unrolled: 21-line block ×3, first 2 shown]
	v_add_u32_e32 v16, 0x3000, v47
	s_waitcnt lgkmcnt(0)
	v_pk_add_f32 v[8:9], v[6:7], v[0:1]
	v_pk_add_f32 v[0:1], v[6:7], v[0:1] neg_lo:[0,1] neg_hi:[0,1]
	v_mov_b32_e32 v6, v9
	v_mov_b32_e32 v7, v0
	v_mov_b32_e32 v9, v1
	s_waitcnt vmcnt(1)
	v_pk_mul_f32 v[10:11], v[6:7], v[14:15] op_sel:[0,1]
	s_nop 0
	v_pk_add_f32 v[12:13], v[8:9], v[10:11] op_sel:[0,1] op_sel_hi:[1,0]
	v_mov_b32_e32 v9, v10
	v_mov_b32_e32 v0, v11
	v_pk_fma_f32 v[10:11], v[14:15], v[6:7], v[12:13] neg_lo:[1,0,0] neg_hi:[1,0,0]
	v_pk_fma_f32 v[12:13], v[14:15], v[6:7], v[12:13] op_sel_hi:[0,1,1]
	v_pk_add_f32 v[0:1], v[8:9], v[0:1] neg_lo:[0,1] neg_hi:[0,1]
	v_mov_b32_e32 v11, v13
	v_pk_fma_f32 v[0:1], v[14:15], v[6:7], v[0:1] op_sel_hi:[0,1,1]
	ds_write_b64 v45, v[10:11] offset:5760
	ds_write_b64 v2, v[0:1] offset:9600
	ds_read_b64 v[0:1], v2 offset:8640
	ds_read_b64 v[6:7], v45 offset:6720
	v_add_u32_e32 v14, 0x1800, v47
	v_add_u32_e32 v15, 0x2400, v47
	s_waitcnt lgkmcnt(0)
	v_pk_add_f32 v[8:9], v[6:7], v[0:1]
	v_pk_add_f32 v[0:1], v[6:7], v[0:1] neg_lo:[0,1] neg_hi:[0,1]
	v_mov_b32_e32 v6, v9
	v_mov_b32_e32 v7, v0
	;; [unrolled: 1-line block ×3, first 2 shown]
	s_waitcnt vmcnt(0)
	v_pk_mul_f32 v[10:11], v[6:7], v[4:5] op_sel:[0,1]
	s_nop 0
	v_pk_add_f32 v[12:13], v[8:9], v[10:11] op_sel:[0,1] op_sel_hi:[1,0]
	v_mov_b32_e32 v9, v10
	v_mov_b32_e32 v0, v11
	v_pk_fma_f32 v[10:11], v[4:5], v[6:7], v[12:13] neg_lo:[1,0,0] neg_hi:[1,0,0]
	v_pk_fma_f32 v[12:13], v[4:5], v[6:7], v[12:13] op_sel_hi:[0,1,1]
	v_pk_add_f32 v[0:1], v[8:9], v[0:1] neg_lo:[0,1] neg_hi:[0,1]
	v_mov_b32_e32 v11, v13
	v_pk_fma_f32 v[0:1], v[4:5], v[6:7], v[0:1] op_sel_hi:[0,1,1]
	ds_write_b64 v45, v[10:11] offset:6720
	ds_write_b64 v2, v[0:1] offset:8640
	s_waitcnt lgkmcnt(0)
	s_barrier
	s_barrier
	ds_read2_b64 v[40:43], v3 offset0:120 offset1:192
	ds_read2_b64 v[48:51], v14 offset0:120 offset1:192
	;; [unrolled: 1-line block ×5, first 2 shown]
	v_add_u32_e32 v4, 0x800, v47
	s_waitcnt lgkmcnt(3)
	v_pk_add_f32 v[24:25], v[48:49], v[40:41] neg_lo:[0,1] neg_hi:[0,1]
	s_waitcnt lgkmcnt(2)
	v_pk_add_f32 v[14:15], v[40:41], v[52:53] neg_lo:[0,1] neg_hi:[0,1]
	v_pk_add_f32 v[22:23], v[40:41], v[52:53]
	s_waitcnt lgkmcnt(0)
	v_pk_add_f32 v[16:17], v[0:1], v[40:41]
	v_pk_add_f32 v[18:19], v[40:41], v[48:49] neg_lo:[0,1] neg_hi:[0,1]
	v_pk_add_f32 v[40:41], v[2:3], v[42:43]
	v_pk_add_f32 v[16:17], v[16:17], v[48:49]
	;; [unrolled: 1-line block ×3, first 2 shown]
	v_pk_add_f32 v[12:13], v[48:49], v[56:57] neg_lo:[0,1] neg_hi:[0,1]
	v_pk_add_f32 v[26:27], v[56:57], v[52:53] neg_lo:[0,1] neg_hi:[0,1]
	ds_read2_b64 v[8:11], v4 offset0:56 offset1:128
	v_add_u32_e32 v4, 0x1400, v47
	v_pk_add_f32 v[28:29], v[16:17], v[56:57]
	v_pk_add_f32 v[16:17], v[48:49], v[56:57]
	v_pk_add_f32 v[20:21], v[52:53], v[56:57] neg_lo:[0,1] neg_hi:[0,1]
	v_pk_add_f32 v[56:57], v[40:41], v[58:59]
	v_add_u32_e32 v40, 0x2000, v47
	v_add_u32_e32 v48, 0x2c00, v47
	ds_read2_b64 v[4:7], v4 offset0:56 offset1:128
	v_pk_add_f32 v[60:61], v[42:43], v[54:55] neg_lo:[0,1] neg_hi:[0,1]
	v_pk_add_f32 v[62:63], v[42:43], v[54:55]
	v_pk_add_f32 v[64:65], v[50:51], v[42:43] neg_lo:[0,1] neg_hi:[0,1]
	v_pk_add_f32 v[66:67], v[42:43], v[50:51] neg_lo:[0,1] neg_hi:[0,1]
	;; [unrolled: 1-line block ×3, first 2 shown]
	v_pk_add_f32 v[70:71], v[50:51], v[58:59]
	ds_read2_b64 v[40:43], v40 offset0:56 offset1:128
	ds_read2_b64 v[48:51], v48 offset0:56 offset1:128
	v_pk_add_f32 v[72:73], v[58:59], v[54:55] neg_lo:[0,1] neg_hi:[0,1]
	v_pk_add_f32 v[58:59], v[54:55], v[58:59] neg_lo:[0,1] neg_hi:[0,1]
	v_pk_add_f32 v[28:29], v[28:29], v[52:53]
	v_pk_add_f32 v[52:53], v[56:57], v[54:55]
	s_waitcnt lgkmcnt(2)
	v_pk_add_f32 v[54:55], v[6:7], v[10:11] neg_lo:[0,1] neg_hi:[0,1]
	s_waitcnt lgkmcnt(0)
	v_pk_add_f32 v[56:57], v[42:43], v[50:51] neg_lo:[0,1] neg_hi:[0,1]
	v_pk_fma_f32 v[62:63], v[62:63], 0.5, v[2:3] op_sel_hi:[1,0,1] neg_lo:[1,0,0] neg_hi:[1,0,0]
	v_pk_add_f32 v[54:55], v[54:55], v[56:57]
	v_pk_add_f32 v[56:57], v[64:65], v[72:73]
	v_pk_mul_f32 v[64:65], v[68:69], s[12:13] op_sel_hi:[1,0]
	ds_read_b64 v[78:79], v45
	v_pk_add_f32 v[72:73], v[62:63], v[64:65] op_sel:[0,1] op_sel_hi:[1,0] neg_lo:[0,1] neg_hi:[0,1]
	v_pk_add_f32 v[62:63], v[62:63], v[64:65] op_sel:[0,1] op_sel_hi:[1,0]
	v_pk_mul_f32 v[64:65], v[60:61], s[4:5] op_sel_hi:[1,0]
	v_pk_add_f32 v[80:81], v[6:7], v[42:43] neg_lo:[0,1] neg_hi:[0,1]
	v_pk_add_f32 v[62:63], v[62:63], v[64:65] op_sel:[0,1] op_sel_hi:[1,0] neg_lo:[0,1] neg_hi:[0,1]
	v_pk_add_f32 v[64:65], v[72:73], v[64:65] op_sel:[0,1] op_sel_hi:[1,0]
	v_mov_b32_e32 v73, v63
	v_mov_b32_e32 v72, v64
	v_pk_fma_f32 v[72:73], v[56:57], s[10:11], v[72:73] op_sel_hi:[1,0,1]
	v_pk_mul_f32 v[82:83], v[80:81], s[12:13] op_sel_hi:[1,0]
	v_pk_mul_f32 v[74:75], v[72:73], s[12:13] op_sel_hi:[1,0]
	v_mov_b32_e32 v63, v65
	v_pk_fma_f32 v[76:77], v[72:73], s[10:11], v[74:75] op_sel:[0,0,1] op_sel_hi:[1,0,0]
	v_pk_fma_f32 v[72:73], v[72:73], s[10:11], v[74:75] op_sel:[0,0,1] op_sel_hi:[1,0,0] neg_lo:[0,0,1] neg_hi:[0,0,1]
	ds_read_b64 v[74:75], v47 offset:14784
	v_mov_b32_e32 v77, v73
	v_pk_add_f32 v[72:73], v[10:11], v[50:51]
	v_pk_fma_f32 v[56:57], v[56:57], s[10:11], v[62:63] op_sel_hi:[1,0,1]
	s_waitcnt lgkmcnt(1)
	v_pk_fma_f32 v[72:73], v[72:73], 0.5, v[78:79] op_sel_hi:[1,0,1] neg_lo:[1,0,0] neg_hi:[1,0,0]
	v_pk_mul_f32 v[62:63], v[56:57], s[10:11] op_sel_hi:[1,0]
	v_pk_add_f32 v[84:85], v[72:73], v[82:83] op_sel:[0,1] op_sel_hi:[1,0] neg_lo:[0,1] neg_hi:[0,1]
	v_pk_add_f32 v[72:73], v[72:73], v[82:83] op_sel:[0,1] op_sel_hi:[1,0]
	v_pk_add_f32 v[82:83], v[10:11], v[50:51] neg_lo:[0,1] neg_hi:[0,1]
	v_pk_fma_f32 v[56:57], v[56:57], s[14:15], v[62:63] op_sel:[0,0,1] op_sel_hi:[1,1,0] neg_lo:[0,0,1] neg_hi:[0,0,1]
	v_pk_mul_f32 v[86:87], v[82:83], s[4:5] op_sel_hi:[1,0]
	s_movk_i32 s13, 0x48
	v_pk_add_f32 v[72:73], v[72:73], v[86:87] op_sel:[0,1] op_sel_hi:[1,0] neg_lo:[0,1] neg_hi:[0,1]
	v_pk_add_f32 v[84:85], v[84:85], v[86:87] op_sel:[0,1] op_sel_hi:[1,0]
	v_mov_b32_e32 v63, v73
	v_mov_b32_e32 v62, v84
	;; [unrolled: 1-line block ×3, first 2 shown]
	v_pk_fma_f32 v[62:63], v[54:55], s[10:11], v[62:63] op_sel_hi:[1,0,1]
	v_pk_fma_f32 v[54:55], v[54:55], s[10:11], v[72:73] op_sel_hi:[1,0,1]
	v_mad_u32_u24 v31, v36, s13, v31
	v_add_u32_e32 v90, v31, v46
	v_pk_add_f32 v[64:65], v[62:63], v[76:77]
	v_pk_add_f32 v[72:73], v[54:55], v[56:57] op_sel:[0,1] op_sel_hi:[1,0]
	v_pk_add_f32 v[24:25], v[24:25], v[26:27]
	v_pk_fma_f32 v[22:23], v[22:23], 0.5, v[0:1] op_sel_hi:[1,0,1] neg_lo:[1,0,0] neg_hi:[1,0,0]
	v_pk_mul_f32 v[26:27], v[12:13], s[12:13] op_sel_hi:[1,0]
	s_waitcnt lgkmcnt(0)
	s_barrier
	ds_write2_b64 v90, v[64:65], v[72:73] offset0:2 offset1:3
	v_pk_add_f32 v[64:65], v[22:23], v[26:27] op_sel:[0,1] op_sel_hi:[1,0] neg_lo:[0,1] neg_hi:[0,1]
	v_pk_add_f32 v[22:23], v[22:23], v[26:27] op_sel:[0,1] op_sel_hi:[1,0]
	v_pk_mul_f32 v[26:27], v[14:15], s[4:5] op_sel_hi:[1,0]
	v_pk_fma_f32 v[0:1], v[16:17], 0.5, v[0:1] op_sel_hi:[1,0,1] neg_lo:[1,0,0] neg_hi:[1,0,0]
	v_pk_add_f32 v[22:23], v[22:23], v[26:27] op_sel:[0,1] op_sel_hi:[1,0] neg_lo:[0,1] neg_hi:[0,1]
	v_pk_add_f32 v[26:27], v[64:65], v[26:27] op_sel:[0,1] op_sel_hi:[1,0]
	v_mov_b32_e32 v65, v23
	v_mov_b32_e32 v64, v26
	;; [unrolled: 1-line block ×3, first 2 shown]
	v_pk_fma_f32 v[26:27], v[24:25], s[10:11], v[64:65] op_sel_hi:[1,0,1]
	v_pk_fma_f32 v[22:23], v[24:25], s[10:11], v[22:23] op_sel_hi:[1,0,1]
	v_pk_add_f32 v[24:25], v[40:41], v[48:49] op_sel:[1,1] op_sel_hi:[0,0]
	v_pk_fma_f32 v[64:65], v[24:25], 0.5, v[8:9] op_sel:[0,0,1] op_sel_hi:[1,0,0] neg_lo:[1,0,0] neg_hi:[1,0,0]
	v_pk_add_f32 v[24:25], v[4:5], v[74:75]
	v_pk_mul_f32 v[14:15], v[14:15], s[12:13] op_sel_hi:[1,0]
	v_pk_fma_f32 v[72:73], v[24:25], 0.5, v[8:9] op_sel_hi:[1,0,1] neg_lo:[1,0,0] neg_hi:[1,0,0]
	v_pk_add_f32 v[8:9], v[8:9], v[4:5]
	v_pk_add_f32 v[24:25], v[78:79], v[10:11]
	v_pk_add_f32 v[86:87], v[4:5], v[74:75] op_sel:[1,1] op_sel_hi:[0,0] neg_lo:[0,1] neg_hi:[0,1]
	v_pk_add_f32 v[16:17], v[0:1], v[14:15] op_sel:[0,1] op_sel_hi:[1,0]
	v_pk_add_f32 v[0:1], v[0:1], v[14:15] op_sel:[0,1] op_sel_hi:[1,0] neg_lo:[0,1] neg_hi:[0,1]
	v_pk_mul_f32 v[12:13], v[12:13], s[4:5] op_sel_hi:[1,0]
	v_pk_add_f32 v[24:25], v[24:25], v[6:7]
	v_pk_add_f32 v[8:9], v[8:9], v[40:41]
	v_pk_add_f32 v[16:17], v[16:17], v[12:13] op_sel:[0,1] op_sel_hi:[1,0]
	v_pk_add_f32 v[0:1], v[0:1], v[12:13] op_sel:[0,1] op_sel_hi:[1,0] neg_lo:[0,1] neg_hi:[0,1]
	v_pk_mul_f32 v[12:13], v[86:87], s[12:13] op_sel_hi:[1,0]
	v_pk_add_f32 v[84:85], v[4:5], v[40:41] op_sel:[1,1] op_sel_hi:[0,0] neg_lo:[0,1] neg_hi:[0,1]
	v_pk_add_f32 v[4:5], v[40:41], v[4:5] neg_lo:[0,1] neg_hi:[0,1]
	v_pk_add_f32 v[24:25], v[24:25], v[42:43]
	v_pk_add_f32 v[40:41], v[40:41], v[48:49] neg_lo:[0,1] neg_hi:[0,1]
	v_pk_add_f32 v[8:9], v[8:9], v[48:49]
	v_pk_add_f32 v[88:89], v[74:75], v[48:49] op_sel:[1,1] op_sel_hi:[0,0] neg_lo:[0,1] neg_hi:[0,1]
	v_pk_add_f32 v[14:15], v[64:65], v[12:13] op_sel:[0,1] op_sel_hi:[1,0]
	v_pk_add_f32 v[12:13], v[64:65], v[12:13] op_sel:[0,1] op_sel_hi:[1,0] neg_lo:[0,1] neg_hi:[0,1]
	v_pk_add_f32 v[10:11], v[10:11], v[6:7] neg_lo:[0,1] neg_hi:[0,1]
	v_pk_add_f32 v[6:7], v[6:7], v[42:43]
	v_pk_add_f32 v[42:43], v[50:51], v[42:43] neg_lo:[0,1] neg_hi:[0,1]
	v_pk_add_f32 v[50:51], v[24:25], v[50:51]
	;; [unrolled: 2-line block ×3, first 2 shown]
	v_pk_add_f32 v[8:9], v[84:85], v[88:89]
	v_pk_fma_f32 v[14:15], v[40:41], s[4:5], v[14:15] op_sel_hi:[1,0,1]
	v_pk_fma_f32 v[12:13], v[40:41], s[4:5], v[12:13] op_sel_hi:[1,0,1] neg_lo:[1,0,0] neg_hi:[1,0,0]
	v_pk_add_f32 v[18:19], v[18:19], v[20:21]
	v_pk_add_f32 v[4:5], v[4:5], v[48:49]
	v_pk_fma_f32 v[20:21], v[8:9], s[10:11], v[14:15] op_sel_hi:[1,0,1]
	v_mov_b32_e32 v15, v13
	v_pk_fma_f32 v[48:49], v[8:9], s[10:11], v[12:13] op_sel_hi:[1,0,1]
	v_pk_mul_f32 v[12:13], v[40:41], s[12:13] op_sel_hi:[1,0]
	v_pk_fma_f32 v[8:9], v[8:9], s[10:11], v[14:15] op_sel_hi:[1,0,1]
	v_pk_add_f32 v[14:15], v[72:73], v[12:13] op_sel:[0,1] op_sel_hi:[1,0] neg_lo:[0,1] neg_hi:[0,1]
	v_pk_add_f32 v[12:13], v[72:73], v[12:13] op_sel:[0,1] op_sel_hi:[1,0]
	v_pk_fma_f32 v[64:65], v[86:87], s[4:5], v[14:15] op_sel_hi:[1,0,1]
	v_pk_fma_f32 v[40:41], v[86:87], s[4:5], v[12:13] op_sel_hi:[1,0,1] neg_lo:[1,0,0] neg_hi:[1,0,0]
	v_mov_b32_e32 v12, v64
	v_mov_b32_e32 v13, v41
	v_pk_fma_f32 v[12:13], v[4:5], s[10:11], v[12:13] op_sel_hi:[1,0,1]
	v_mov_b32_e32 v41, v65
	v_pk_mul_f32 v[14:15], v[12:13], s[12:13] op_sel_hi:[1,0]
	v_cmp_gt_u32_e32 vcc, s13, v36
	v_pk_fma_f32 v[72:73], v[12:13], s[10:11], v[14:15] op_sel:[0,0,1] op_sel_hi:[1,0,0]
	v_pk_fma_f32 v[12:13], v[12:13], s[10:11], v[14:15] op_sel:[0,0,1] op_sel_hi:[1,0,0] neg_lo:[0,0,1] neg_hi:[0,0,1]
	s_nop 0
	v_mov_b32_e32 v73, v13
	v_pk_mul_f32 v[12:13], v[8:9], s[16:17] op_sel_hi:[1,0]
	s_mov_b32 s17, s4
	v_pk_fma_f32 v[12:13], v[8:9], s[4:5], v[12:13] op_sel:[0,0,1] op_sel_hi:[1,1,0] neg_lo:[0,0,1] neg_hi:[0,0,1]
	v_mov_b32_e32 v8, v0
	v_mov_b32_e32 v9, v17
	v_mov_b32_e32 v17, v1
	v_pk_mul_f32 v[0:1], v[20:21], s[16:17] op_sel:[1,0]
	v_pk_fma_f32 v[14:15], v[18:19], s[10:11], v[8:9] op_sel_hi:[1,0,1]
	v_pk_fma_f32 v[16:17], v[18:19], s[10:11], v[16:17] op_sel_hi:[1,0,1]
	v_pk_fma_f32 v[8:9], v[48:49], s[18:19], v[0:1] op_sel_hi:[0,1,1] neg_lo:[0,0,1] neg_hi:[0,0,1]
	v_pk_fma_f32 v[18:19], v[48:49], s[18:19], v[0:1] op_sel_hi:[0,1,1]
	v_pk_fma_f32 v[0:1], v[4:5], s[10:11], v[40:41] op_sel_hi:[1,0,1]
	v_mov_b32_e32 v19, v9
	v_pk_mul_f32 v[4:5], v[0:1], s[10:11] op_sel_hi:[1,0]
	v_pk_add_f32 v[40:41], v[66:67], v[58:59]
	v_pk_fma_f32 v[20:21], v[0:1], s[14:15], v[4:5] op_sel:[0,0,1] op_sel_hi:[1,1,0] neg_lo:[0,0,1] neg_hi:[0,0,1]
	v_pk_fma_f32 v[0:1], v[6:7], 0.5, v[78:79] op_sel_hi:[1,0,1] neg_lo:[1,0,0] neg_hi:[1,0,0]
	v_pk_mul_f32 v[6:7], v[82:83], s[12:13] op_sel_hi:[1,0]
	v_pk_add_f32 v[4:5], v[10:11], v[42:43]
	v_pk_add_f32 v[8:9], v[0:1], v[6:7] op_sel:[0,1] op_sel_hi:[1,0]
	v_pk_add_f32 v[0:1], v[0:1], v[6:7] op_sel:[0,1] op_sel_hi:[1,0] neg_lo:[0,1] neg_hi:[0,1]
	v_pk_mul_f32 v[6:7], v[80:81], s[4:5] op_sel_hi:[1,0]
	s_nop 0
	v_pk_add_f32 v[10:11], v[0:1], v[6:7] op_sel:[0,1] op_sel_hi:[1,0] neg_lo:[0,1] neg_hi:[0,1]
	v_pk_add_f32 v[6:7], v[8:9], v[6:7] op_sel:[0,1] op_sel_hi:[1,0]
	v_mov_b32_e32 v43, v11
	v_mov_b32_e32 v42, v6
	;; [unrolled: 1-line block ×3, first 2 shown]
	v_pk_fma_f32 v[8:9], v[70:71], 0.5, v[2:3] op_sel_hi:[1,0,1] neg_lo:[1,0,0] neg_hi:[1,0,0]
	v_pk_fma_f32 v[42:43], v[4:5], s[10:11], v[42:43] op_sel_hi:[1,0,1]
	v_pk_fma_f32 v[48:49], v[4:5], s[10:11], v[10:11] op_sel_hi:[1,0,1]
	v_pk_mul_f32 v[4:5], v[60:61], s[12:13] op_sel_hi:[1,0]
	v_pk_add_f32 v[0:1], v[26:27], v[72:73]
	v_pk_add_f32 v[58:59], v[8:9], v[4:5] op_sel:[0,1] op_sel_hi:[1,0]
	v_pk_add_f32 v[60:61], v[8:9], v[4:5] op_sel:[0,1] op_sel_hi:[1,0] neg_lo:[0,1] neg_hi:[0,1]
	v_pk_add_f32 v[10:11], v[26:27], v[72:73] neg_lo:[0,1] neg_hi:[0,1]
	v_pk_mul_f32 v[26:27], v[68:69], s[4:5] op_sel_hi:[1,0]
	v_pk_add_f32 v[2:3], v[22:23], v[20:21] op_sel:[0,1] op_sel_hi:[1,0]
	v_pk_add_f32 v[58:59], v[26:27], v[58:59] op_sel:[1,0] op_sel_hi:[0,1]
	v_pk_add_f32 v[26:27], v[60:61], v[26:27] op_sel:[0,1] op_sel_hi:[1,0] neg_lo:[0,1] neg_hi:[0,1]
	v_pk_add_f32 v[4:5], v[14:15], v[12:13]
	v_pk_fma_f32 v[60:61], v[40:41], s[10:11], v[26:27] op_sel_hi:[1,0,1]
	v_mov_b32_e32 v27, v59
	v_pk_fma_f32 v[26:27], v[40:41], s[10:11], v[26:27] op_sel_hi:[1,0,1]
	v_pk_fma_f32 v[58:59], v[40:41], s[10:11], v[58:59] op_sel_hi:[1,0,1]
	s_mov_b32 s10, s5
	s_mov_b32 s11, s4
	v_pk_mul_f32 v[40:41], v[26:27], s[16:17] op_sel_hi:[1,0]
	v_pk_add_f32 v[6:7], v[28:29], v[24:25] neg_lo:[0,1] neg_hi:[0,1]
	v_pk_fma_f32 v[26:27], v[26:27], s[10:11], v[40:41] op_sel:[0,0,1] op_sel_hi:[1,1,0] neg_lo:[0,0,1] neg_hi:[0,0,1]
	v_pk_mul_f32 v[40:41], v[58:59], s[16:17] op_sel_hi:[0,1]
	v_pk_fma_f32 v[58:59], v[60:61], s[18:19], v[40:41] op_sel:[1,0,0]
	v_pk_fma_f32 v[40:41], v[60:61], s[18:19], v[40:41] op_sel:[1,0,0] neg_lo:[0,0,1] neg_hi:[0,0,1]
	v_pk_add_f32 v[60:61], v[50:51], v[52:53]
	v_mov_b32_e32 v59, v41
	v_pk_add_f32 v[40:41], v[42:43], v[58:59]
	ds_write2_b64 v90, v[60:61], v[40:41] offset1:1
	v_pk_add_f32 v[40:41], v[48:49], v[26:27] op_sel:[1,0] op_sel_hi:[0,1]
	v_pk_add_f32 v[50:51], v[50:51], v[52:53] neg_lo:[0,1] neg_hi:[0,1]
	v_mov_b32_e32 v52, v41
	v_mov_b32_e32 v53, v40
	v_pk_add_f32 v[40:41], v[42:43], v[58:59] neg_lo:[0,1] neg_hi:[0,1]
	v_pk_add_f32 v[42:43], v[62:63], v[76:77] neg_lo:[0,1] neg_hi:[0,1]
	v_pk_add_f32 v[26:27], v[48:49], v[26:27] op_sel:[1,0] op_sel_hi:[0,1] neg_lo:[0,1] neg_hi:[0,1]
	v_pk_add_f32 v[8:9], v[16:17], v[18:19] neg_lo:[0,1] neg_hi:[0,1]
	ds_write2_b64 v90, v[40:41], v[42:43] offset0:6 offset1:7
	v_pk_add_f32 v[40:41], v[54:55], v[56:57] op_sel:[0,1] op_sel_hi:[1,0] neg_lo:[0,1] neg_hi:[0,1]
	v_mov_b32_e32 v42, v27
	v_mov_b32_e32 v43, v26
	ds_write2_b64 v90, v[52:53], v[50:51] offset0:4 offset1:5
	ds_write2_b64 v90, v[40:41], v[42:43] offset0:8 offset1:9
	s_and_saveexec_b64 s[4:5], vcc
	s_cbranch_execz .LBB0_21
; %bb.20:
	v_lshl_add_u32 v30, v30, 3, v31
	v_mov_b32_e32 v26, v21
	v_mov_b32_e32 v27, v20
	v_add_u32_e32 v31, 0x2580, v30
	v_pk_add_f32 v[20:21], v[28:29], v[24:25]
	v_pk_add_f32 v[16:17], v[16:17], v[18:19]
	ds_write2_b64 v31, v[20:21], v[16:17] offset1:1
	v_add_u32_e32 v16, 0x2590, v30
	ds_write2_b64 v16, v[0:1], v[2:3] offset1:1
	v_add_u32_e32 v16, 0x25a0, v30
	;; [unrolled: 2-line block ×4, first 2 shown]
	v_pk_add_f32 v[16:17], v[22:23], v[26:27] neg_lo:[0,1] neg_hi:[0,1]
	v_pk_add_f32 v[12:13], v[14:15], v[12:13] neg_lo:[0,1] neg_hi:[0,1]
	ds_write2_b64 v18, v[16:17], v[12:13] offset1:1
.LBB0_21:
	s_or_b64 exec, exec, s[4:5]
	v_add_u32_e32 v20, 0x1700, v47
	s_waitcnt lgkmcnt(0)
	s_barrier
	ds_read2_b64 v[24:27], v20 offset0:24 offset1:224
	v_add_u32_e32 v20, 0x2100, v47
	v_add_u32_e32 v12, 0x300, v47
	;; [unrolled: 1-line block ×3, first 2 shown]
	ds_read2_b64 v[28:31], v20 offset0:24 offset1:224
	v_add_u32_e32 v20, 0x2b00, v47
	ds_read2_b64 v[12:15], v12 offset0:24 offset1:224
	ds_read2_b64 v[16:19], v16 offset0:24 offset1:224
	;; [unrolled: 1-line block ×3, first 2 shown]
	ds_read_b64 v[40:41], v45
	ds_read_b64 v[42:43], v47 offset:13760
	s_movk_i32 s4, 0x50
	v_cmp_gt_u32_e32 vcc, s4, v36
	s_and_saveexec_b64 s[4:5], vcc
	s_cbranch_execz .LBB0_23
; %bb.22:
	v_add_u32_e32 v8, 0x180, v47
	ds_read2st64_b64 v[0:3], v8 offset0:3 offset1:8
	ds_read2st64_b64 v[4:7], v8 offset0:13 offset1:18
	;; [unrolled: 1-line block ×3, first 2 shown]
.LBB0_23:
	s_or_b64 exec, exec, s[4:5]
	s_movk_i32 s4, 0xcd
	v_mul_lo_u16_sdwa v48, v36, s4 dst_sel:DWORD dst_unused:UNUSED_PAD src0_sel:BYTE_0 src1_sel:DWORD
	v_lshrrev_b16_e32 v68, 11, v48
	v_mul_lo_u16_e32 v48, 10, v68
	v_sub_u16_e32 v69, v36, v48
	v_add_u16_e32 v48, 0x78, v36
	v_mul_lo_u16_sdwa v49, v48, s4 dst_sel:DWORD dst_unused:UNUSED_PAD src0_sel:BYTE_0 src1_sel:DWORD
	v_lshrrev_b16_e32 v70, 11, v49
	v_mul_lo_u16_e32 v49, 10, v70
	v_mov_b32_e32 v56, 5
	v_sub_u16_e32 v71, v48, v49
	v_mul_u32_u24_sdwa v48, v71, v56 dst_sel:DWORD dst_unused:UNUSED_PAD src0_sel:BYTE_0 src1_sel:DWORD
	v_mul_u32_u24_sdwa v56, v69, v56 dst_sel:DWORD dst_unused:UNUSED_PAD src0_sel:BYTE_0 src1_sel:DWORD
	v_lshlrev_b32_e32 v57, 3, v48
	v_lshlrev_b32_e32 v72, 3, v56
	global_load_dwordx4 v[48:51], v57, s[8:9]
	global_load_dwordx2 v[64:65], v57, s[8:9] offset:32
	global_load_dwordx4 v[52:55], v57, s[8:9] offset:16
	s_nop 0
	global_load_dwordx4 v[56:59], v72, s[8:9]
	global_load_dwordx4 v[60:63], v72, s[8:9] offset:16
	global_load_dwordx2 v[66:67], v72, s[8:9] offset:32
	s_movk_i32 s10, 0x1e0
	v_mov_b32_e32 v72, 3
	v_mad_u32_u24 v68, v68, s10, 0
	v_lshlrev_b32_sdwa v69, v72, v69 dst_sel:DWORD dst_unused:UNUSED_PAD src0_sel:DWORD src1_sel:BYTE_0
	v_mad_u32_u24 v70, v70, s10, 0
	v_lshlrev_b32_sdwa v71, v72, v71 dst_sel:DWORD dst_unused:UNUSED_PAD src0_sel:DWORD src1_sel:BYTE_0
	v_add3_u32 v75, v68, v69, v46
	v_add3_u32 v90, v70, v71, v46
	s_mov_b32 s4, 0x3f5db3d7
	s_mov_b32 s5, 0xbf5db3d7
	s_waitcnt lgkmcnt(0)
	s_barrier
	s_waitcnt vmcnt(5)
	v_pk_mul_f32 v[68:69], v[48:49], v[16:17] op_sel:[0,1]
	s_waitcnt vmcnt(4)
	v_pk_mul_f32 v[76:77], v[42:43], v[64:65] op_sel:[0,1]
	;; [unrolled: 2-line block ×3, first 2 shown]
	v_pk_mul_f32 v[80:81], v[58:59], v[18:19] op_sel:[0,1]
	s_waitcnt vmcnt(1)
	v_pk_mul_f32 v[82:83], v[60:61], v[26:27] op_sel:[0,1]
	v_pk_mul_f32 v[84:85], v[62:63], v[30:31] op_sel:[0,1]
	s_waitcnt vmcnt(0)
	v_pk_mul_f32 v[86:87], v[66:67], v[22:23] op_sel:[0,1]
	v_pk_mul_f32 v[70:71], v[50:51], v[24:25] op_sel:[0,1]
	;; [unrolled: 1-line block ×3, first 2 shown]
	v_pk_fma_f32 v[88:89], v[48:49], v[16:17], v[68:69] op_sel:[0,0,1] op_sel_hi:[1,1,0] neg_lo:[0,0,1] neg_hi:[0,0,1]
	v_pk_fma_f32 v[16:17], v[48:49], v[16:17], v[68:69] op_sel:[0,0,1] op_sel_hi:[1,0,0]
	v_pk_fma_f32 v[68:69], v[42:43], v[64:65], v[76:77] op_sel:[0,0,1] op_sel_hi:[1,1,0] neg_lo:[0,0,1] neg_hi:[0,0,1]
	v_pk_fma_f32 v[42:43], v[42:43], v[64:65], v[76:77] op_sel:[0,0,1] op_sel_hi:[1,0,0]
	;; [unrolled: 2-line block ×7, first 2 shown]
	v_mov_b32_e32 v74, v55
	v_pk_fma_f32 v[48:49], v[50:51], v[24:25], v[70:71] op_sel:[0,0,1] op_sel_hi:[1,1,0] neg_lo:[0,0,1] neg_hi:[0,0,1]
	v_pk_fma_f32 v[24:25], v[50:51], v[24:25], v[70:71] op_sel:[0,0,1] op_sel_hi:[1,0,0]
	v_pk_fma_f32 v[50:51], v[52:53], v[28:29], v[72:73] op_sel:[0,0,1] op_sel_hi:[1,1,0] neg_lo:[0,0,1] neg_hi:[0,0,1]
	v_pk_fma_f32 v[28:29], v[52:53], v[28:29], v[72:73] op_sel:[0,0,1] op_sel_hi:[1,0,0]
	v_mov_b32_e32 v57, v19
	v_mov_b32_e32 v59, v27
	;; [unrolled: 1-line block ×4, first 2 shown]
	v_pk_mul_f32 v[52:53], v[20:21], v[74:75] op_sel_hi:[1,0]
	v_mov_b32_e32 v49, v25
	v_mov_b32_e32 v51, v29
	;; [unrolled: 1-line block ×3, first 2 shown]
	v_pk_add_f32 v[24:25], v[56:57], v[60:61]
	v_pk_add_f32 v[26:27], v[56:57], v[60:61] neg_lo:[0,1] neg_hi:[0,1]
	v_pk_add_f32 v[28:29], v[58:59], v[62:63]
	v_mov_b32_e32 v89, v17
	v_pk_fma_f32 v[16:17], v[20:21], v[54:55], v[52:53] op_sel:[0,0,1] op_sel_hi:[1,1,0] neg_lo:[0,0,1] neg_hi:[0,0,1]
	v_pk_fma_f32 v[20:21], v[20:21], v[54:55], v[52:53] op_sel:[0,0,1] op_sel_hi:[1,0,0]
	v_pk_fma_f32 v[24:25], v[24:25], 0.5, v[40:41] op_sel_hi:[1,0,1] neg_lo:[1,0,0] neg_hi:[1,0,0]
	v_pk_mul_f32 v[26:27], v[26:27], s[4:5] op_sel_hi:[1,0]
	v_pk_fma_f32 v[28:29], v[28:29], 0.5, v[64:65] op_sel_hi:[1,0,1] neg_lo:[1,0,0] neg_hi:[1,0,0]
	v_pk_add_f32 v[52:53], v[58:59], v[62:63] neg_lo:[0,1] neg_hi:[0,1]
	v_mov_b32_e32 v69, v43
	v_pk_add_f32 v[42:43], v[26:27], v[24:25] op_sel:[1,0] op_sel_hi:[0,1]
	v_pk_fma_f32 v[54:55], v[52:53], s[4:5], v[28:29] op_sel:[0,0,1] op_sel_hi:[1,0,0]
	v_pk_fma_f32 v[28:29], v[52:53], s[4:5], v[28:29] op_sel:[0,0,1] op_sel_hi:[1,0,0] neg_lo:[1,0,0] neg_hi:[1,0,0]
	v_pk_add_f32 v[24:25], v[24:25], v[26:27] op_sel:[0,1] op_sel_hi:[1,0] neg_lo:[0,1] neg_hi:[0,1]
	v_mov_b32_e32 v27, v43
	v_mov_b32_e32 v52, v54
	;; [unrolled: 1-line block ×3, first 2 shown]
	v_mul_f32_e32 v43, 0xbf5db3d7, v55
	v_mov_b32_e32 v17, v21
	v_pk_add_f32 v[20:21], v[40:41], v[56:57]
	v_pk_add_f32 v[22:23], v[64:65], v[58:59]
	v_mov_b32_e32 v26, v24
	v_mul_f32_e32 v24, 0x3f5db3d7, v28
	v_fmac_f32_e32 v43, 0.5, v28
	v_pk_mul_f32 v[28:29], v[52:53], 0.5 op_sel_hi:[1,0]
	v_pk_add_f32 v[20:21], v[20:21], v[60:61]
	v_pk_add_f32 v[22:23], v[22:23], v[62:63]
	v_pk_fma_f32 v[28:29], v[52:53], s[4:5], v[28:29] op_sel:[0,0,1] op_sel_hi:[1,1,0] neg_lo:[0,0,1] neg_hi:[0,0,1]
	v_pk_add_f32 v[40:41], v[20:21], v[22:23]
	v_fmac_f32_e32 v24, 0.5, v55
	v_pk_add_f32 v[52:53], v[26:27], v[28:29]
	v_pk_add_f32 v[20:21], v[20:21], v[22:23] neg_lo:[0,1] neg_hi:[0,1]
	v_pk_add_f32 v[14:15], v[12:13], v[48:49]
	v_add_f32_e32 v54, v42, v24
	v_add_f32_e32 v55, v25, v43
	v_sub_f32_e32 v24, v42, v24
	v_sub_f32_e32 v25, v25, v43
	ds_write2_b64 v75, v[52:53], v[20:21] offset0:20 offset1:30
	v_pk_add_f32 v[20:21], v[26:27], v[28:29] neg_lo:[0,1] neg_hi:[0,1]
	v_pk_add_f32 v[14:15], v[14:15], v[16:17]
	ds_write2_b64 v75, v[24:25], v[20:21] offset0:40 offset1:50
	v_pk_add_f32 v[20:21], v[48:49], v[16:17]
	v_pk_add_f32 v[16:17], v[48:49], v[16:17] neg_lo:[0,1] neg_hi:[0,1]
	v_pk_add_f32 v[22:23], v[50:51], v[68:69]
	v_pk_fma_f32 v[12:13], v[20:21], 0.5, v[12:13] op_sel_hi:[1,0,1] neg_lo:[1,0,0] neg_hi:[1,0,0]
	v_pk_mul_f32 v[16:17], v[16:17], s[4:5] op_sel_hi:[1,0]
	v_pk_fma_f32 v[22:23], v[22:23], 0.5, v[88:89] op_sel_hi:[1,0,1] neg_lo:[1,0,0] neg_hi:[1,0,0]
	v_pk_add_f32 v[24:25], v[50:51], v[68:69] neg_lo:[0,1] neg_hi:[0,1]
	v_pk_add_f32 v[20:21], v[16:17], v[12:13] op_sel:[1,0] op_sel_hi:[0,1]
	v_pk_fma_f32 v[26:27], v[24:25], s[4:5], v[22:23] op_sel:[0,0,1] op_sel_hi:[1,0,0]
	v_pk_fma_f32 v[22:23], v[24:25], s[4:5], v[22:23] op_sel:[0,0,1] op_sel_hi:[1,0,0] neg_lo:[1,0,0] neg_hi:[1,0,0]
	v_pk_add_f32 v[12:13], v[12:13], v[16:17] op_sel:[0,1] op_sel_hi:[1,0] neg_lo:[0,1] neg_hi:[0,1]
	v_mov_b32_e32 v17, v21
	v_mov_b32_e32 v24, v26
	;; [unrolled: 1-line block ×3, first 2 shown]
	v_mul_f32_e32 v21, 0xbf5db3d7, v27
	v_pk_add_f32 v[18:19], v[88:89], v[50:51]
	v_mov_b32_e32 v16, v12
	v_mul_f32_e32 v12, 0x3f5db3d7, v22
	v_fmac_f32_e32 v21, 0.5, v22
	v_pk_mul_f32 v[22:23], v[24:25], 0.5 op_sel_hi:[1,0]
	v_pk_add_f32 v[18:19], v[18:19], v[68:69]
	v_pk_fma_f32 v[22:23], v[24:25], s[4:5], v[22:23] op_sel:[0,0,1] op_sel_hi:[1,1,0] neg_lo:[0,0,1] neg_hi:[0,0,1]
	v_pk_add_f32 v[30:31], v[14:15], v[18:19]
	v_fmac_f32_e32 v12, 0.5, v27
	v_pk_add_f32 v[24:25], v[16:17], v[22:23]
	v_pk_add_f32 v[14:15], v[14:15], v[18:19] neg_lo:[0,1] neg_hi:[0,1]
	ds_write2_b64 v75, v[40:41], v[54:55] offset1:10
	v_add_f32_e32 v26, v20, v12
	v_add_f32_e32 v27, v13, v21
	v_sub_f32_e32 v12, v20, v12
	v_sub_f32_e32 v13, v13, v21
	ds_write2_b64 v90, v[24:25], v[14:15] offset0:20 offset1:30
	v_pk_add_f32 v[14:15], v[16:17], v[22:23] neg_lo:[0,1] neg_hi:[0,1]
	ds_write2_b64 v90, v[30:31], v[26:27] offset1:10
	ds_write2_b64 v90, v[12:13], v[14:15] offset0:40 offset1:50
	s_and_saveexec_b64 s[10:11], vcc
	s_cbranch_execz .LBB0_25
; %bb.24:
	v_add_u32_e32 v12, 0xf0, v36
	s_mov_b32 s12, 0xcccd
	v_mul_u32_u24_sdwa v13, v12, s12 dst_sel:DWORD dst_unused:UNUSED_PAD src0_sel:WORD_0 src1_sel:DWORD
	v_lshrrev_b32_e32 v22, 19, v13
	v_mul_lo_u16_e32 v13, 10, v22
	v_sub_u16_e32 v23, v12, v13
	v_mul_u32_u24_e32 v12, 5, v23
	v_lshlrev_b32_e32 v24, 3, v12
	global_load_dwordx4 v[12:15], v24, s[8:9]
	global_load_dwordx4 v[16:19], v24, s[8:9] offset:16
	global_load_dwordx2 v[20:21], v24, s[8:9] offset:32
	v_mul_lo_u16_e32 v22, 60, v22
	v_lshlrev_b32_e32 v22, 3, v22
	v_lshl_add_u32 v23, v23, 3, 0
	v_add3_u32 v42, v23, v22, v46
	s_waitcnt vmcnt(2)
	v_pk_mul_f32 v[22:23], v[4:5], v[14:15] op_sel:[1,0]
	s_waitcnt vmcnt(1)
	v_pk_mul_f32 v[24:25], v[8:9], v[18:19] op_sel:[1,0]
	v_pk_mul_f32 v[28:29], v[6:7], v[16:17] op_sel:[1,0]
	s_waitcnt vmcnt(0)
	v_pk_mul_f32 v[30:31], v[10:11], v[20:21] op_sel:[1,0]
	v_pk_mul_f32 v[26:27], v[2:3], v[12:13] op_sel:[1,0]
	v_pk_fma_f32 v[40:41], v[4:5], v[14:15], v[22:23] op_sel:[0,0,1] op_sel_hi:[1,1,0] neg_lo:[0,0,1] neg_hi:[0,0,1]
	v_pk_fma_f32 v[4:5], v[4:5], v[14:15], v[22:23] op_sel:[0,0,1] op_sel_hi:[0,1,0]
	v_pk_fma_f32 v[14:15], v[8:9], v[18:19], v[24:25] op_sel:[0,0,1] op_sel_hi:[1,1,0] neg_lo:[0,0,1] neg_hi:[0,0,1]
	v_pk_fma_f32 v[8:9], v[8:9], v[18:19], v[24:25] op_sel:[0,0,1] op_sel_hi:[0,1,0]
	;; [unrolled: 2-line block ×5, first 2 shown]
	v_mov_b32_e32 v19, v7
	v_mov_b32_e32 v17, v11
	;; [unrolled: 1-line block ×5, first 2 shown]
	v_pk_add_f32 v[8:9], v[18:19], v[16:17]
	v_pk_add_f32 v[2:3], v[0:1], v[40:41]
	v_pk_add_f32 v[4:5], v[20:21], v[18:19]
	v_pk_add_f32 v[6:7], v[18:19], v[16:17] neg_lo:[0,1] neg_hi:[0,1]
	v_pk_add_f32 v[10:11], v[40:41], v[14:15]
	v_pk_add_f32 v[12:13], v[40:41], v[14:15] neg_lo:[0,1] neg_hi:[0,1]
	v_pk_fma_f32 v[8:9], v[8:9], 0.5, v[20:21] op_sel_hi:[1,0,1] neg_lo:[1,0,0] neg_hi:[1,0,0]
	v_pk_add_f32 v[2:3], v[2:3], v[14:15]
	v_pk_add_f32 v[4:5], v[4:5], v[16:17]
	v_pk_fma_f32 v[0:1], v[10:11], 0.5, v[0:1] op_sel_hi:[1,0,1] neg_lo:[1,0,0] neg_hi:[1,0,0]
	v_pk_mul_f32 v[10:11], v[12:13], s[4:5] op_sel_hi:[1,0]
	v_pk_fma_f32 v[14:15], v[6:7], s[4:5], v[8:9] op_sel:[0,0,1] op_sel_hi:[1,0,0]
	v_pk_fma_f32 v[6:7], v[6:7], s[4:5], v[8:9] op_sel:[0,0,1] op_sel_hi:[1,0,0] neg_lo:[1,0,0] neg_hi:[1,0,0]
	v_pk_add_f32 v[12:13], v[2:3], v[4:5]
	v_pk_add_f32 v[8:9], v[0:1], v[10:11] op_sel:[0,1] op_sel_hi:[1,0] neg_lo:[0,1] neg_hi:[0,1]
	v_pk_add_f32 v[0:1], v[0:1], v[10:11] op_sel:[0,1] op_sel_hi:[1,0]
	v_pk_add_f32 v[2:3], v[2:3], v[4:5] neg_lo:[0,1] neg_hi:[0,1]
	v_mov_b32_e32 v4, v14
	v_mov_b32_e32 v5, v7
	;; [unrolled: 1-line block ×4, first 2 shown]
	v_mul_f32_e32 v1, 0xbf5db3d7, v15
	v_mul_f32_e32 v8, 0x3f5db3d7, v6
	v_pk_mul_f32 v[16:17], v[4:5], 0.5 op_sel_hi:[1,0]
	v_fmac_f32_e32 v1, 0.5, v6
	v_fmac_f32_e32 v8, 0.5, v15
	v_pk_fma_f32 v[4:5], v[4:5], s[4:5], v[16:17] op_sel:[0,0,1] op_sel_hi:[1,1,0] neg_lo:[0,0,1] neg_hi:[0,0,1]
	v_sub_f32_e32 v7, v9, v1
	v_sub_f32_e32 v6, v0, v8
	v_add_f32_e32 v1, v9, v1
	v_add_f32_e32 v0, v0, v8
	v_pk_add_f32 v[8:9], v[10:11], v[4:5]
	ds_write2_b64 v42, v[12:13], v[0:1] offset1:10
	v_pk_add_f32 v[0:1], v[10:11], v[4:5] neg_lo:[0,1] neg_hi:[0,1]
	ds_write2_b64 v42, v[8:9], v[2:3] offset0:20 offset1:30
	ds_write2_b64 v42, v[6:7], v[0:1] offset0:40 offset1:50
.LBB0_25:
	s_or_b64 exec, exec, s[10:11]
	v_subrev_u32_e32 v0, 60, v36
	v_cmp_gt_u32_e32 vcc, 60, v36
	v_mov_b32_e32 v1, 0
	s_waitcnt lgkmcnt(0)
	v_cndmask_b32_e32 v76, v0, v36, vcc
	v_mul_i32_i24_e32 v0, 15, v76
	v_lshl_add_u64 v[30:31], v[0:1], 3, s[8:9]
	s_barrier
	global_load_dwordx4 v[2:5], v[30:31], off offset:400
	global_load_dwordx4 v[6:9], v[30:31], off offset:416
	;; [unrolled: 1-line block ×7, first 2 shown]
	ds_read2_b64 v[40:43], v47 offset0:120 offset1:240
	global_load_dwordx2 v[30:31], v[30:31], off offset:512
	v_add_u32_e32 v86, 0x800, v47
	ds_read_b64 v[72:73], v45
	ds_read_b64 v[74:75], v47 offset:14400
	ds_read2_b64 v[48:51], v86 offset0:104 offset1:224
	v_mov_b32_e32 v0, 0x3c0
	v_cmp_lt_u32_e32 vcc, 59, v36
	v_add_u32_e32 v87, 0x1000, v47
	v_add_u32_e32 v88, 0x1800, v47
	v_cndmask_b32_e32 v0, 0, v0, vcc
	v_or_b32_e32 v0, v0, v76
	v_lshlrev_b32_e32 v0, 3, v0
	v_add_u32_e32 v89, 0x2000, v47
	v_add_u32_e32 v90, 0x2800, v47
	;; [unrolled: 1-line block ×3, first 2 shown]
	ds_read2_b64 v[52:55], v87 offset0:88 offset1:208
	ds_read2_b64 v[56:59], v88 offset0:72 offset1:192
	;; [unrolled: 1-line block ×5, first 2 shown]
	v_add3_u32 v46, 0, v0, v46
	s_mov_b32 s10, 0x3f3504f3
	s_mov_b32 s12, 0x3f6c835e
	;; [unrolled: 1-line block ×3, first 2 shown]
	s_waitcnt lgkmcnt(0)
	s_barrier
	s_movk_i32 s4, 0x1000
	s_waitcnt vmcnt(7)
	v_pk_mul_f32 v[76:77], v[2:3], v[40:41] op_sel:[0,1]
	s_waitcnt vmcnt(6)
	v_pk_mul_f32 v[80:81], v[6:7], v[48:49] op_sel:[0,1]
	v_mov_b32_e32 v0, v9
	v_pk_fma_f32 v[84:85], v[2:3], v[40:41], v[76:77] op_sel:[0,0,1] op_sel_hi:[1,1,0] neg_lo:[0,0,1] neg_hi:[0,0,1]
	v_pk_fma_f32 v[2:3], v[2:3], v[40:41], v[76:77] op_sel:[0,0,1] op_sel_hi:[1,0,0]
	v_pk_mul_f32 v[78:79], v[4:5], v[42:43] op_sel:[0,1]
	s_waitcnt vmcnt(5)
	v_pk_mul_f32 v[82:83], v[52:53], v[10:11] op_sel:[0,1]
	v_mov_b32_e32 v2, v13
	v_pk_fma_f32 v[76:77], v[6:7], v[48:49], v[80:81] op_sel:[0,0,1] op_sel_hi:[1,1,0] neg_lo:[0,0,1] neg_hi:[0,0,1]
	v_pk_fma_f32 v[6:7], v[6:7], v[48:49], v[80:81] op_sel:[0,0,1] op_sel_hi:[1,0,0]
	v_pk_mul_f32 v[48:49], v[50:51], v[0:1] op_sel_hi:[1,0]
	v_pk_fma_f32 v[40:41], v[4:5], v[42:43], v[78:79] op_sel:[0,0,1] op_sel_hi:[1,1,0] neg_lo:[0,0,1] neg_hi:[0,0,1]
	v_pk_fma_f32 v[4:5], v[4:5], v[42:43], v[78:79] op_sel:[0,0,1] op_sel_hi:[1,0,0]
	s_waitcnt vmcnt(4)
	v_pk_mul_f32 v[42:43], v[56:57], v[14:15] op_sel:[0,1]
	v_pk_fma_f32 v[78:79], v[50:51], v[8:9], v[48:49] op_sel:[0,0,1] op_sel_hi:[1,1,0] neg_lo:[0,0,1] neg_hi:[0,0,1]
	v_pk_fma_f32 v[8:9], v[50:51], v[8:9], v[48:49] op_sel:[0,0,1] op_sel_hi:[1,0,0]
	v_pk_fma_f32 v[50:51], v[52:53], v[10:11], v[82:83] op_sel:[0,0,1] op_sel_hi:[1,1,0] neg_lo:[0,0,1] neg_hi:[0,0,1]
	v_pk_fma_f32 v[10:11], v[52:53], v[10:11], v[82:83] op_sel:[0,0,1] op_sel_hi:[1,0,0]
	v_pk_mul_f32 v[52:53], v[54:55], v[2:3] op_sel_hi:[1,0]
	s_waitcnt vmcnt(3)
	v_mov_b32_e32 v2, v21
	v_pk_fma_f32 v[80:81], v[54:55], v[12:13], v[52:53] op_sel:[0,0,1] op_sel_hi:[1,1,0] neg_lo:[0,0,1] neg_hi:[0,0,1]
	v_pk_fma_f32 v[12:13], v[54:55], v[12:13], v[52:53] op_sel:[0,0,1] op_sel_hi:[1,0,0]
	v_pk_fma_f32 v[54:55], v[56:57], v[14:15], v[42:43] op_sel:[0,0,1] op_sel_hi:[1,1,0] neg_lo:[0,0,1] neg_hi:[0,0,1]
	v_pk_fma_f32 v[14:15], v[56:57], v[14:15], v[42:43] op_sel:[0,0,1] op_sel_hi:[1,0,0]
	v_mov_b32_e32 v85, v3
	v_pk_mul_f32 v[2:3], v[62:63], v[2:3] op_sel_hi:[1,0]
	s_waitcnt vmcnt(2)
	v_mov_b32_e32 v4, v25
	v_mov_b32_e32 v55, v15
	v_pk_fma_f32 v[14:15], v[62:63], v[20:21], v[2:3] op_sel:[0,0,1] op_sel_hi:[1,1,0] neg_lo:[0,0,1] neg_hi:[0,0,1]
	v_pk_fma_f32 v[2:3], v[62:63], v[20:21], v[2:3] op_sel:[0,0,1] op_sel_hi:[1,0,0]
	v_mov_b32_e32 v41, v5
	v_mov_b32_e32 v15, v3
	v_pk_mul_f32 v[2:3], v[66:67], v[4:5] op_sel_hi:[1,0]
	v_mov_b32_e32 v0, v17
	v_pk_fma_f32 v[4:5], v[66:67], v[24:25], v[2:3] op_sel:[0,0,1] op_sel_hi:[1,1,0] neg_lo:[0,0,1] neg_hi:[0,0,1]
	v_pk_fma_f32 v[2:3], v[66:67], v[24:25], v[2:3] op_sel:[0,0,1] op_sel_hi:[1,0,0]
	v_pk_mul_f32 v[42:43], v[58:59], v[0:1] op_sel_hi:[1,0]
	v_mov_b32_e32 v5, v3
	s_waitcnt vmcnt(1)
	v_pk_mul_f32 v[2:3], v[68:69], v[26:27] op_sel:[0,1]
	v_mov_b32_e32 v79, v9
	v_pk_fma_f32 v[8:9], v[68:69], v[26:27], v[2:3] op_sel:[0,0,1] op_sel_hi:[1,1,0] neg_lo:[0,0,1] neg_hi:[0,0,1]
	v_pk_fma_f32 v[2:3], v[68:69], v[26:27], v[2:3] op_sel:[0,0,1] op_sel_hi:[1,0,0]
	v_mov_b32_e32 v0, v29
	v_mov_b32_e32 v77, v7
	;; [unrolled: 1-line block ×3, first 2 shown]
	v_pk_fma_f32 v[6:7], v[58:59], v[16:17], v[42:43] op_sel:[0,0,1] op_sel_hi:[1,1,0] neg_lo:[0,0,1] neg_hi:[0,0,1]
	v_pk_fma_f32 v[10:11], v[58:59], v[16:17], v[42:43] op_sel:[0,0,1] op_sel_hi:[1,0,0]
	v_mov_b32_e32 v9, v3
	v_pk_mul_f32 v[2:3], v[70:71], v[0:1] op_sel_hi:[1,0]
	v_mov_b32_e32 v7, v11
	v_pk_fma_f32 v[10:11], v[70:71], v[28:29], v[2:3] op_sel:[0,0,1] op_sel_hi:[1,1,0] neg_lo:[0,0,1] neg_hi:[0,0,1]
	v_pk_fma_f32 v[2:3], v[70:71], v[28:29], v[2:3] op_sel:[0,0,1] op_sel_hi:[1,0,0]
	v_mov_b32_e32 v81, v13
	v_mov_b32_e32 v11, v3
	s_waitcnt vmcnt(0)
	v_pk_mul_f32 v[2:3], v[74:75], v[30:31] op_sel:[0,1]
	v_pk_mul_f32 v[48:49], v[60:61], v[18:19] op_sel:[0,1]
	v_pk_fma_f32 v[12:13], v[74:75], v[30:31], v[2:3] op_sel:[0,0,1] op_sel_hi:[1,1,0] neg_lo:[0,0,1] neg_hi:[0,0,1]
	v_pk_fma_f32 v[2:3], v[74:75], v[30:31], v[2:3] op_sel:[0,0,1] op_sel_hi:[1,0,0]
	v_pk_add_f32 v[4:5], v[78:79], v[4:5] neg_lo:[0,1] neg_hi:[0,1]
	v_mov_b32_e32 v13, v3
	v_pk_add_f32 v[2:3], v[72:73], v[6:7] neg_lo:[0,1] neg_hi:[0,1]
	v_pk_mul_f32 v[52:53], v[64:65], v[22:23] op_sel:[0,1]
	v_pk_fma_f32 v[56:57], v[60:61], v[18:19], v[48:49] op_sel:[0,0,1] op_sel_hi:[1,1,0] neg_lo:[0,0,1] neg_hi:[0,0,1]
	v_pk_fma_f32 v[18:19], v[60:61], v[18:19], v[48:49] op_sel:[0,0,1] op_sel_hi:[1,0,0]
	v_pk_fma_f32 v[16:17], v[78:79], 2.0, v[4:5] op_sel_hi:[1,0,1] neg_lo:[0,0,1] neg_hi:[0,0,1]
	v_pk_add_f32 v[14:15], v[40:41], v[14:15] neg_lo:[0,1] neg_hi:[0,1]
	v_pk_add_f32 v[10:11], v[80:81], v[10:11] neg_lo:[0,1] neg_hi:[0,1]
	v_pk_add_f32 v[42:43], v[2:3], v[4:5] op_sel:[0,1] op_sel_hi:[1,0] neg_lo:[0,1] neg_hi:[0,1]
	v_pk_add_f32 v[4:5], v[2:3], v[4:5] op_sel:[0,1] op_sel_hi:[1,0]
	v_pk_fma_f32 v[48:49], v[64:65], v[22:23], v[52:53] op_sel:[0,0,1] op_sel_hi:[1,1,0] neg_lo:[0,0,1] neg_hi:[0,0,1]
	v_pk_fma_f32 v[22:23], v[64:65], v[22:23], v[52:53] op_sel:[0,0,1] op_sel_hi:[1,0,0]
	v_mov_b32_e32 v57, v19
	v_pk_fma_f32 v[20:21], v[80:81], 2.0, v[10:11] op_sel_hi:[1,0,1] neg_lo:[0,0,1] neg_hi:[0,0,1]
	v_mov_b32_e32 v43, v5
	v_pk_add_f32 v[4:5], v[14:15], v[10:11] op_sel:[0,1] op_sel_hi:[1,0] neg_lo:[0,1] neg_hi:[0,1]
	v_pk_add_f32 v[10:11], v[14:15], v[10:11] op_sel:[0,1] op_sel_hi:[1,0]
	v_mov_b32_e32 v49, v23
	v_pk_add_f32 v[22:23], v[84:85], v[56:57] neg_lo:[0,1] neg_hi:[0,1]
	v_pk_add_f32 v[8:9], v[50:51], v[8:9] neg_lo:[0,1] neg_hi:[0,1]
	v_mov_b32_e32 v5, v11
	v_pk_fma_f32 v[18:19], v[40:41], 2.0, v[14:15] op_sel_hi:[1,0,1] neg_lo:[0,0,1] neg_hi:[0,0,1]
	v_pk_fma_f32 v[26:27], v[50:51], 2.0, v[8:9] op_sel_hi:[1,0,1] neg_lo:[0,0,1] neg_hi:[0,0,1]
	v_pk_fma_f32 v[10:11], v[14:15], 2.0, v[4:5] op_sel_hi:[1,0,1] neg_lo:[0,0,1] neg_hi:[0,0,1]
	v_pk_add_f32 v[14:15], v[22:23], v[8:9] op_sel:[0,1] op_sel_hi:[1,0] neg_lo:[0,1] neg_hi:[0,1]
	v_pk_add_f32 v[8:9], v[22:23], v[8:9] op_sel:[0,1] op_sel_hi:[1,0]
	v_pk_add_f32 v[28:29], v[76:77], v[48:49] neg_lo:[0,1] neg_hi:[0,1]
	v_pk_add_f32 v[12:13], v[54:55], v[12:13] neg_lo:[0,1] neg_hi:[0,1]
	v_mov_b32_e32 v15, v9
	v_pk_fma_f32 v[24:25], v[84:85], 2.0, v[22:23] op_sel_hi:[1,0,1] neg_lo:[0,0,1] neg_hi:[0,0,1]
	v_pk_fma_f32 v[40:41], v[54:55], 2.0, v[12:13] op_sel_hi:[1,0,1] neg_lo:[0,0,1] neg_hi:[0,0,1]
	;; [unrolled: 1-line block ×3, first 2 shown]
	v_pk_add_f32 v[22:23], v[28:29], v[12:13] op_sel:[0,1] op_sel_hi:[1,0] neg_lo:[0,1] neg_hi:[0,1]
	v_pk_add_f32 v[12:13], v[28:29], v[12:13] op_sel:[0,1] op_sel_hi:[1,0]
	v_pk_fma_f32 v[6:7], v[72:73], 2.0, v[2:3] op_sel_hi:[1,0,1] neg_lo:[0,0,1] neg_hi:[0,0,1]
	v_pk_fma_f32 v[2:3], v[2:3], 2.0, v[42:43] op_sel_hi:[1,0,1] neg_lo:[0,0,1] neg_hi:[0,0,1]
	v_mov_b32_e32 v23, v13
	v_pk_fma_f32 v[30:31], v[76:77], 2.0, v[28:29] op_sel_hi:[1,0,1] neg_lo:[0,0,1] neg_hi:[0,0,1]
	v_pk_fma_f32 v[12:13], v[28:29], 2.0, v[22:23] op_sel_hi:[1,0,1] neg_lo:[0,0,1] neg_hi:[0,0,1]
	v_pk_mul_f32 v[28:29], v[10:11], s[10:11] op_sel_hi:[1,0]
	v_pk_fma_f32 v[10:11], v[10:11], s[10:11], v[2:3] op_sel_hi:[1,0,1] neg_lo:[1,0,0] neg_hi:[1,0,0]
	v_pk_add_f32 v[16:17], v[6:7], v[16:17] neg_lo:[0,1] neg_hi:[0,1]
	v_pk_add_f32 v[48:49], v[10:11], v[28:29] op_sel:[0,1] op_sel_hi:[1,0] neg_lo:[0,1] neg_hi:[0,1]
	v_pk_add_f32 v[10:11], v[10:11], v[28:29] op_sel:[0,1] op_sel_hi:[1,0]
	v_pk_mul_f32 v[28:29], v[12:13], s[10:11] op_sel_hi:[1,0]
	v_pk_fma_f32 v[12:13], v[12:13], s[10:11], v[8:9] op_sel_hi:[1,0,1] neg_lo:[1,0,0] neg_hi:[1,0,0]
	v_pk_add_f32 v[20:21], v[18:19], v[20:21] neg_lo:[0,1] neg_hi:[0,1]
	v_pk_add_f32 v[50:51], v[12:13], v[28:29] op_sel:[0,1] op_sel_hi:[1,0] neg_lo:[0,1] neg_hi:[0,1]
	v_pk_add_f32 v[12:13], v[12:13], v[28:29] op_sel:[0,1] op_sel_hi:[1,0]
	v_pk_add_f32 v[26:27], v[24:25], v[26:27] neg_lo:[0,1] neg_hi:[0,1]
	v_pk_add_f32 v[40:41], v[30:31], v[40:41] neg_lo:[0,1] neg_hi:[0,1]
	v_mov_b32_e32 v49, v11
	v_mov_b32_e32 v51, v13
	v_pk_fma_f32 v[6:7], v[6:7], 2.0, v[16:17] op_sel_hi:[1,0,1] neg_lo:[0,0,1] neg_hi:[0,0,1]
	v_pk_fma_f32 v[18:19], v[18:19], 2.0, v[20:21] op_sel_hi:[1,0,1] neg_lo:[0,0,1] neg_hi:[0,0,1]
	;; [unrolled: 1-line block ×6, first 2 shown]
	v_pk_add_f32 v[18:19], v[6:7], v[18:19] neg_lo:[0,1] neg_hi:[0,1]
	v_pk_add_f32 v[30:31], v[24:25], v[30:31] neg_lo:[0,1] neg_hi:[0,1]
	v_pk_fma_f32 v[28:29], v[8:9], s[12:13], v[2:3] op_sel_hi:[1,0,1] neg_lo:[1,0,0] neg_hi:[1,0,0]
	v_pk_mul_f32 v[8:9], v[8:9], s[14:15] op_sel_hi:[1,0]
	v_pk_fma_f32 v[6:7], v[6:7], 2.0, v[18:19] op_sel_hi:[1,0,1] neg_lo:[0,0,1] neg_hi:[0,0,1]
	v_pk_fma_f32 v[24:25], v[24:25], 2.0, v[30:31] op_sel_hi:[1,0,1] neg_lo:[0,0,1] neg_hi:[0,0,1]
	v_pk_add_f32 v[52:53], v[28:29], v[8:9] op_sel:[0,1] op_sel_hi:[1,0] neg_lo:[0,1] neg_hi:[0,1]
	v_pk_add_f32 v[8:9], v[28:29], v[8:9] op_sel:[0,1] op_sel_hi:[1,0]
	v_pk_add_f32 v[24:25], v[6:7], v[24:25] neg_lo:[0,1] neg_hi:[0,1]
	v_mov_b32_e32 v53, v9
	v_pk_fma_f32 v[6:7], v[6:7], 2.0, v[24:25] op_sel_hi:[1,0,1] neg_lo:[0,0,1] neg_hi:[0,0,1]
	v_pk_fma_f32 v[2:3], v[2:3], 2.0, v[52:53] op_sel_hi:[1,0,1] neg_lo:[0,0,1] neg_hi:[0,0,1]
	ds_write2_b64 v46, v[6:7], v[2:3] offset1:60
	v_pk_add_f32 v[2:3], v[16:17], v[20:21] op_sel:[0,1] op_sel_hi:[1,0] neg_lo:[0,1] neg_hi:[0,1]
	v_pk_add_f32 v[6:7], v[16:17], v[20:21] op_sel:[0,1] op_sel_hi:[1,0]
	v_fmamk_f32 v0, v50, 0x3ec3ef15, v48
	v_mov_b32_e32 v3, v7
	v_fmamk_f32 v9, v13, 0x3ec3ef15, v11
	v_fmamk_f32 v8, v13, 0xbf6c835e, v0
	v_pk_fma_f32 v[6:7], v[16:17], 2.0, v[2:3] op_sel_hi:[1,0,1] neg_lo:[0,0,1] neg_hi:[0,0,1]
	v_pk_add_f32 v[12:13], v[26:27], v[40:41] op_sel:[0,1] op_sel_hi:[1,0] neg_lo:[0,1] neg_hi:[0,1]
	v_pk_add_f32 v[16:17], v[26:27], v[40:41] op_sel:[0,1] op_sel_hi:[1,0]
	v_pk_mul_f32 v[28:29], v[22:23], s[10:11] op_sel_hi:[1,0]
	v_mov_b32_e32 v13, v17
	v_pk_fma_f32 v[16:17], v[26:27], 2.0, v[12:13] op_sel_hi:[1,0,1] neg_lo:[0,0,1] neg_hi:[0,0,1]
	v_pk_fma_f32 v[22:23], v[22:23], s[10:11], v[14:15] op_sel_hi:[1,0,1]
	v_pk_mul_f32 v[20:21], v[16:17], s[10:11] op_sel_hi:[1,0]
	v_pk_fma_f32 v[16:17], v[16:17], s[10:11], v[6:7] op_sel_hi:[1,0,1] neg_lo:[1,0,0] neg_hi:[1,0,0]
	v_pk_add_f32 v[40:41], v[22:23], v[28:29] op_sel:[0,1] op_sel_hi:[1,0] neg_lo:[0,1] neg_hi:[0,1]
	v_pk_add_f32 v[26:27], v[16:17], v[20:21] op_sel:[0,1] op_sel_hi:[1,0] neg_lo:[0,1] neg_hi:[0,1]
	v_pk_add_f32 v[16:17], v[16:17], v[20:21] op_sel:[0,1] op_sel_hi:[1,0]
	v_pk_add_f32 v[22:23], v[22:23], v[28:29] op_sel:[0,1] op_sel_hi:[1,0]
	v_mov_b32_e32 v27, v17
	v_pk_mul_f32 v[16:17], v[4:5], s[10:11] op_sel_hi:[1,0]
	v_pk_fma_f32 v[4:5], v[4:5], s[10:11], v[42:43] op_sel_hi:[1,0,1]
	v_mov_b32_e32 v41, v23
	v_pk_add_f32 v[20:21], v[4:5], v[16:17] op_sel:[0,1] op_sel_hi:[1,0] neg_lo:[0,1] neg_hi:[0,1]
	v_pk_add_f32 v[4:5], v[4:5], v[16:17] op_sel:[0,1] op_sel_hi:[1,0]
	v_pk_fma_f32 v[14:15], v[14:15], 2.0, v[40:41] op_sel_hi:[1,0,1] neg_lo:[0,0,1] neg_hi:[0,0,1]
	v_mov_b32_e32 v21, v5
	v_pk_fma_f32 v[16:17], v[42:43], 2.0, v[20:21] op_sel_hi:[1,0,1] neg_lo:[0,0,1] neg_hi:[0,0,1]
	v_pk_fma_f32 v[6:7], v[6:7], 2.0, v[26:27] op_sel_hi:[1,0,1] neg_lo:[0,0,1] neg_hi:[0,0,1]
	v_pk_fma_f32 v[28:29], v[14:15], s[14:15], v[16:17] op_sel_hi:[1,0,1] neg_lo:[1,0,0] neg_hi:[1,0,0]
	v_pk_mul_f32 v[14:15], v[14:15], s[12:13] op_sel_hi:[1,0]
	v_fmac_f32_e32 v9, 0x3f6c835e, v50
	v_pk_add_f32 v[42:43], v[28:29], v[14:15] op_sel:[0,1] op_sel_hi:[1,0] neg_lo:[0,1] neg_hi:[0,1]
	v_pk_add_f32 v[14:15], v[28:29], v[14:15] op_sel:[0,1] op_sel_hi:[1,0]
	v_fmamk_f32 v0, v40, 0x3f6c835e, v20
	v_mov_b32_e32 v43, v15
	v_pk_fma_f32 v[14:15], v[16:17], 2.0, v[42:43] op_sel_hi:[1,0,1] neg_lo:[0,0,1] neg_hi:[0,0,1]
	ds_write2_b64 v46, v[6:7], v[14:15] offset0:120 offset1:180
	v_pk_add_f32 v[6:7], v[18:19], v[30:31] op_sel:[0,1] op_sel_hi:[1,0] neg_lo:[0,1] neg_hi:[0,1]
	v_pk_add_f32 v[14:15], v[18:19], v[30:31] op_sel:[0,1] op_sel_hi:[1,0]
	v_fma_f32 v10, v48, 2.0, -v8
	v_mov_b32_e32 v7, v15
	v_fma_f32 v11, v11, 2.0, -v9
	v_fmamk_f32 v16, v23, 0xbec3ef15, v0
	v_pk_fma_f32 v[14:15], v[18:19], 2.0, v[6:7] op_sel_hi:[1,0,1] neg_lo:[0,0,1] neg_hi:[0,0,1]
	v_add_u32_e32 v0, 0x400, v46
	ds_write2_b64 v0, v[14:15], v[10:11] offset0:112 offset1:172
	v_pk_mul_f32 v[10:11], v[12:13], s[10:11] op_sel_hi:[1,0]
	v_pk_fma_f32 v[12:13], v[12:13], s[10:11], v[2:3] op_sel_hi:[1,0,1]
	v_fmamk_f32 v17, v23, 0x3f6c835e, v5
	v_pk_add_f32 v[14:15], v[12:13], v[10:11] op_sel:[0,1] op_sel_hi:[1,0] neg_lo:[0,1] neg_hi:[0,1]
	v_pk_add_f32 v[10:11], v[12:13], v[10:11] op_sel:[0,1] op_sel_hi:[1,0]
	v_fmac_f32_e32 v17, 0x3ec3ef15, v40
	v_mov_b32_e32 v15, v11
	v_fma_f32 v4, v20, 2.0, -v16
	v_fma_f32 v5, v5, 2.0, -v17
	v_pk_fma_f32 v[2:3], v[2:3], 2.0, v[14:15] op_sel_hi:[1,0,1] neg_lo:[0,0,1] neg_hi:[0,0,1]
	v_add_u32_e32 v0, 0x800, v46
	ds_write2_b64 v0, v[2:3], v[4:5] offset0:104 offset1:164
	v_add_u32_e32 v0, 0xc00, v46
	ds_write2_b64 v0, v[24:25], v[52:53] offset0:96 offset1:156
	v_add_u32_e32 v0, 0x1000, v46
	v_lshl_add_u64 v[2:3], v[38:39], 3, s[8:9]
	ds_write2_b64 v0, v[26:27], v[42:43] offset0:88 offset1:148
	v_add_u32_e32 v0, 0x1400, v46
	v_add_co_u32_e32 v2, vcc, s4, v2
	ds_write2_b64 v0, v[6:7], v[8:9] offset0:80 offset1:140
	v_add_u32_e32 v0, 0x1800, v46
	v_addc_co_u32_e32 v3, vcc, 0, v3, vcc
	ds_write2_b64 v0, v[14:15], v[16:17] offset0:72 offset1:132
	s_waitcnt lgkmcnt(0)
	s_barrier
	global_load_dwordx2 v[14:15], v[2:3], off offset:3504
	s_movk_i32 s4, 0x2000
	v_lshl_add_u64 v[2:3], v[36:37], 3, s[8:9]
	v_add_co_u32_e32 v4, vcc, s4, v2
	s_movk_i32 s4, 0x3000
	s_nop 0
	v_addc_co_u32_e32 v5, vcc, 0, v3, vcc
	global_load_dwordx2 v[18:19], v[4:5], off offset:368
	global_load_dwordx2 v[20:21], v[4:5], off offset:1328
	;; [unrolled: 1-line block ×4, first 2 shown]
	v_add_co_u32_e32 v2, vcc, s4, v2
	v_add_u32_e32 v0, 0x400, v47
	s_nop 0
	v_addc_co_u32_e32 v3, vcc, 0, v3, vcc
	global_load_dwordx2 v[26:27], v[2:3], off offset:112
	global_load_dwordx2 v[28:29], v[2:3], off offset:1072
	;; [unrolled: 1-line block ×3, first 2 shown]
	ds_read2_b64 v[2:5], v88 offset0:72 offset1:192
	ds_read2_b64 v[6:9], v89 offset0:56 offset1:176
	;; [unrolled: 1-line block ×3, first 2 shown]
	ds_read_b64 v[38:39], v45
	ds_read_b64 v[42:43], v47 offset:14400
	s_waitcnt vmcnt(7) lgkmcnt(4)
	v_pk_mul_f32 v[16:17], v[14:15], v[4:5] op_sel:[0,1]
	s_nop 0
	v_pk_fma_f32 v[40:41], v[14:15], v[4:5], v[16:17] op_sel:[0,0,1] op_sel_hi:[1,1,0] neg_lo:[0,0,1] neg_hi:[0,0,1]
	v_pk_fma_f32 v[4:5], v[14:15], v[4:5], v[16:17] op_sel:[0,0,1] op_sel_hi:[1,0,0]
	ds_read2_b64 v[14:17], v47 offset0:120 offset1:240
	v_mov_b32_e32 v41, v5
	s_waitcnt vmcnt(6) lgkmcnt(4)
	v_pk_mul_f32 v[4:5], v[18:19], v[6:7] op_sel:[0,1]
	s_waitcnt lgkmcnt(2)
	v_pk_add_f32 v[40:41], v[38:39], v[40:41] neg_lo:[0,1] neg_hi:[0,1]
	v_pk_fma_f32 v[48:49], v[18:19], v[6:7], v[4:5] op_sel:[0,0,1] op_sel_hi:[1,1,0] neg_lo:[0,0,1] neg_hi:[0,0,1]
	v_pk_fma_f32 v[4:5], v[18:19], v[6:7], v[4:5] op_sel:[0,0,1] op_sel_hi:[1,0,0]
	v_pk_fma_f32 v[38:39], v[38:39], 2.0, v[40:41] op_sel_hi:[1,0,1] neg_lo:[0,0,1] neg_hi:[0,0,1]
	v_mov_b32_e32 v49, v5
	s_waitcnt vmcnt(5)
	v_pk_mul_f32 v[4:5], v[20:21], v[8:9] op_sel:[0,1]
	s_waitcnt lgkmcnt(0)
	v_pk_add_f32 v[18:19], v[14:15], v[48:49] neg_lo:[0,1] neg_hi:[0,1]
	v_pk_fma_f32 v[6:7], v[20:21], v[8:9], v[4:5] op_sel:[0,0,1] op_sel_hi:[1,1,0] neg_lo:[0,0,1] neg_hi:[0,0,1]
	v_pk_fma_f32 v[4:5], v[20:21], v[8:9], v[4:5] op_sel:[0,0,1] op_sel_hi:[1,0,0]
	s_waitcnt vmcnt(4)
	v_pk_mul_f32 v[8:9], v[22:23], v[10:11] op_sel:[0,1]
	v_mov_b32_e32 v7, v5
	v_pk_add_f32 v[20:21], v[16:17], v[6:7] neg_lo:[0,1] neg_hi:[0,1]
	ds_read2_b64 v[4:7], v86 offset0:104 offset1:224
	v_pk_fma_f32 v[48:49], v[22:23], v[10:11], v[8:9] op_sel:[0,0,1] op_sel_hi:[1,1,0] neg_lo:[0,0,1] neg_hi:[0,0,1]
	v_pk_fma_f32 v[8:9], v[22:23], v[10:11], v[8:9] op_sel:[0,0,1] op_sel_hi:[1,0,0]
	v_pk_fma_f32 v[16:17], v[16:17], 2.0, v[20:21] op_sel_hi:[1,0,1] neg_lo:[0,0,1] neg_hi:[0,0,1]
	v_mov_b32_e32 v49, v9
	s_waitcnt lgkmcnt(0)
	v_pk_add_f32 v[22:23], v[4:5], v[48:49] neg_lo:[0,1] neg_hi:[0,1]
	ds_read2_b64 v[8:11], v91 offset0:24 offset1:144
	v_pk_fma_f32 v[48:49], v[4:5], 2.0, v[22:23] op_sel_hi:[1,0,1] neg_lo:[0,0,1] neg_hi:[0,0,1]
	s_waitcnt vmcnt(3)
	v_pk_mul_f32 v[4:5], v[12:13], v[24:25] op_sel:[0,1]
	v_pk_fma_f32 v[14:15], v[14:15], 2.0, v[18:19] op_sel_hi:[1,0,1] neg_lo:[0,0,1] neg_hi:[0,0,1]
	v_pk_fma_f32 v[50:51], v[12:13], v[24:25], v[4:5] op_sel:[0,0,1] op_sel_hi:[1,1,0] neg_lo:[0,0,1] neg_hi:[0,0,1]
	v_pk_fma_f32 v[4:5], v[12:13], v[24:25], v[4:5] op_sel:[0,0,1] op_sel_hi:[1,0,0]
	s_nop 0
	v_mov_b32_e32 v51, v5
	v_pk_add_f32 v[12:13], v[6:7], v[50:51] neg_lo:[0,1] neg_hi:[0,1]
	s_waitcnt vmcnt(2) lgkmcnt(0)
	v_pk_mul_f32 v[50:51], v[8:9], v[26:27] op_sel:[0,1]
	v_pk_fma_f32 v[24:25], v[6:7], 2.0, v[12:13] op_sel_hi:[1,0,1] neg_lo:[0,0,1] neg_hi:[0,0,1]
	ds_read2_b64 v[4:7], v87 offset0:88 offset1:208
	v_pk_fma_f32 v[52:53], v[8:9], v[26:27], v[50:51] op_sel:[0,0,1] op_sel_hi:[1,1,0] neg_lo:[0,0,1] neg_hi:[0,0,1]
	v_pk_fma_f32 v[8:9], v[8:9], v[26:27], v[50:51] op_sel:[0,0,1] op_sel_hi:[1,0,0]
	s_waitcnt vmcnt(1)
	v_pk_mul_f32 v[26:27], v[10:11], v[28:29] op_sel:[0,1]
	v_mov_b32_e32 v53, v9
	v_pk_fma_f32 v[50:51], v[10:11], v[28:29], v[26:27] op_sel:[0,0,1] op_sel_hi:[1,1,0] neg_lo:[0,0,1] neg_hi:[0,0,1]
	v_pk_fma_f32 v[10:11], v[10:11], v[28:29], v[26:27] op_sel:[0,0,1] op_sel_hi:[1,0,0]
	s_waitcnt vmcnt(0)
	v_pk_mul_f32 v[26:27], v[42:43], v[30:31] op_sel:[0,1]
	s_waitcnt lgkmcnt(0)
	v_pk_add_f32 v[8:9], v[4:5], v[52:53] neg_lo:[0,1] neg_hi:[0,1]
	v_pk_fma_f32 v[28:29], v[42:43], v[30:31], v[26:27] op_sel:[0,0,1] op_sel_hi:[1,1,0] neg_lo:[0,0,1] neg_hi:[0,0,1]
	v_pk_fma_f32 v[26:27], v[42:43], v[30:31], v[26:27] op_sel:[0,0,1] op_sel_hi:[1,0,0]
	v_mov_b32_e32 v51, v11
	v_mov_b32_e32 v29, v27
	v_pk_fma_f32 v[4:5], v[4:5], 2.0, v[8:9] op_sel_hi:[1,0,1] neg_lo:[0,0,1] neg_hi:[0,0,1]
	v_pk_add_f32 v[10:11], v[6:7], v[50:51] neg_lo:[0,1] neg_hi:[0,1]
	v_pk_add_f32 v[26:27], v[2:3], v[28:29] neg_lo:[0,1] neg_hi:[0,1]
	s_barrier
	ds_write_b64 v47, v[40:41] offset:7680
	ds_write2_b64 v47, v[38:39], v[14:15] offset1:120
	ds_write2_b64 v89, v[18:19], v[20:21] offset0:56 offset1:176
	ds_write2_b64 v0, v[16:17], v[48:49] offset0:112 offset1:232
	;; [unrolled: 1-line block ×3, first 2 shown]
	v_add_u32_e32 v0, 0xc00, v47
	v_pk_fma_f32 v[6:7], v[6:7], 2.0, v[10:11] op_sel_hi:[1,0,1] neg_lo:[0,0,1] neg_hi:[0,0,1]
	v_pk_fma_f32 v[2:3], v[2:3], 2.0, v[26:27] op_sel_hi:[1,0,1] neg_lo:[0,0,1] neg_hi:[0,0,1]
	ds_write2_b64 v0, v[24:25], v[4:5] offset0:96 offset1:216
	ds_write2_b64 v91, v[8:9], v[10:11] offset0:24 offset1:144
	v_add_u32_e32 v0, 0x1400, v47
	ds_write2_b64 v0, v[6:7], v[2:3] offset0:80 offset1:200
	ds_write_b64 v47, v[26:27] offset:14400
	s_waitcnt lgkmcnt(0)
	s_barrier
	s_and_saveexec_b64 s[4:5], s[0:1]
	s_cbranch_execz .LBB0_27
; %bb.26:
	v_mul_lo_u32 v0, s3, v34
	v_mul_lo_u32 v2, s2, v35
	v_mad_u64_u32 v[6:7], s[0:1], s2, v34, 0
	v_lshl_add_u32 v12, v36, 3, v44
	v_add3_u32 v7, v7, v2, v0
	ds_read2_b64 v[2:5], v12 offset1:120
	v_lshl_add_u64 v[6:7], v[6:7], 3, s[6:7]
	v_mov_b32_e32 v37, v1
	v_lshl_add_u64 v[10:11], v[32:33], 3, v[6:7]
	v_lshl_add_u64 v[6:7], v[36:37], 3, v[10:11]
	s_waitcnt lgkmcnt(0)
	global_store_dwordx2 v[6:7], v[2:3], off
	v_add_u32_e32 v2, 0x400, v12
	ds_read2_b64 v[6:9], v2 offset0:112 offset1:232
	v_add_u32_e32 v0, 0x78, v36
	v_lshl_add_u64 v[2:3], v[0:1], 3, v[10:11]
	v_add_u32_e32 v0, 0xf0, v36
	global_store_dwordx2 v[2:3], v[4:5], off
	v_lshl_add_u64 v[2:3], v[0:1], 3, v[10:11]
	s_waitcnt lgkmcnt(0)
	global_store_dwordx2 v[2:3], v[6:7], off
	v_add_u32_e32 v2, 0xc00, v12
	ds_read2_b64 v[2:5], v2 offset0:96 offset1:216
	v_add_u32_e32 v0, 0x168, v36
	v_lshl_add_u64 v[6:7], v[0:1], 3, v[10:11]
	v_add_u32_e32 v0, 0x1e0, v36
	global_store_dwordx2 v[6:7], v[8:9], off
	;; [unrolled: 9-line block ×7, first 2 shown]
	v_lshl_add_u64 v[2:3], v[0:1], 3, v[10:11]
	v_add_u32_e32 v0, 0x708, v36
	v_lshl_add_u64 v[0:1], v[0:1], 3, v[10:11]
	s_waitcnt lgkmcnt(0)
	global_store_dwordx2 v[2:3], v[6:7], off
	global_store_dwordx2 v[0:1], v[8:9], off
.LBB0_27:
	s_endpgm
	.section	.rodata,"a",@progbits
	.p2align	6, 0x0
	.amdhsa_kernel fft_rtc_fwd_len1920_factors_10_6_16_2_wgs_240_tpt_120_halfLds_sp_op_CI_CI_unitstride_sbrr_C2R_dirReg
		.amdhsa_group_segment_fixed_size 0
		.amdhsa_private_segment_fixed_size 0
		.amdhsa_kernarg_size 104
		.amdhsa_user_sgpr_count 2
		.amdhsa_user_sgpr_dispatch_ptr 0
		.amdhsa_user_sgpr_queue_ptr 0
		.amdhsa_user_sgpr_kernarg_segment_ptr 1
		.amdhsa_user_sgpr_dispatch_id 0
		.amdhsa_user_sgpr_kernarg_preload_length 0
		.amdhsa_user_sgpr_kernarg_preload_offset 0
		.amdhsa_user_sgpr_private_segment_size 0
		.amdhsa_uses_dynamic_stack 0
		.amdhsa_enable_private_segment 0
		.amdhsa_system_sgpr_workgroup_id_x 1
		.amdhsa_system_sgpr_workgroup_id_y 0
		.amdhsa_system_sgpr_workgroup_id_z 0
		.amdhsa_system_sgpr_workgroup_info 0
		.amdhsa_system_vgpr_workitem_id 0
		.amdhsa_next_free_vgpr 92
		.amdhsa_next_free_sgpr 28
		.amdhsa_accum_offset 92
		.amdhsa_reserve_vcc 1
		.amdhsa_float_round_mode_32 0
		.amdhsa_float_round_mode_16_64 0
		.amdhsa_float_denorm_mode_32 3
		.amdhsa_float_denorm_mode_16_64 3
		.amdhsa_dx10_clamp 1
		.amdhsa_ieee_mode 1
		.amdhsa_fp16_overflow 0
		.amdhsa_tg_split 0
		.amdhsa_exception_fp_ieee_invalid_op 0
		.amdhsa_exception_fp_denorm_src 0
		.amdhsa_exception_fp_ieee_div_zero 0
		.amdhsa_exception_fp_ieee_overflow 0
		.amdhsa_exception_fp_ieee_underflow 0
		.amdhsa_exception_fp_ieee_inexact 0
		.amdhsa_exception_int_div_zero 0
	.end_amdhsa_kernel
	.text
.Lfunc_end0:
	.size	fft_rtc_fwd_len1920_factors_10_6_16_2_wgs_240_tpt_120_halfLds_sp_op_CI_CI_unitstride_sbrr_C2R_dirReg, .Lfunc_end0-fft_rtc_fwd_len1920_factors_10_6_16_2_wgs_240_tpt_120_halfLds_sp_op_CI_CI_unitstride_sbrr_C2R_dirReg
                                        ; -- End function
	.section	.AMDGPU.csdata,"",@progbits
; Kernel info:
; codeLenInByte = 9748
; NumSgprs: 34
; NumVgprs: 92
; NumAgprs: 0
; TotalNumVgprs: 92
; ScratchSize: 0
; MemoryBound: 0
; FloatMode: 240
; IeeeMode: 1
; LDSByteSize: 0 bytes/workgroup (compile time only)
; SGPRBlocks: 4
; VGPRBlocks: 11
; NumSGPRsForWavesPerEU: 34
; NumVGPRsForWavesPerEU: 92
; AccumOffset: 92
; Occupancy: 5
; WaveLimiterHint : 1
; COMPUTE_PGM_RSRC2:SCRATCH_EN: 0
; COMPUTE_PGM_RSRC2:USER_SGPR: 2
; COMPUTE_PGM_RSRC2:TRAP_HANDLER: 0
; COMPUTE_PGM_RSRC2:TGID_X_EN: 1
; COMPUTE_PGM_RSRC2:TGID_Y_EN: 0
; COMPUTE_PGM_RSRC2:TGID_Z_EN: 0
; COMPUTE_PGM_RSRC2:TIDIG_COMP_CNT: 0
; COMPUTE_PGM_RSRC3_GFX90A:ACCUM_OFFSET: 22
; COMPUTE_PGM_RSRC3_GFX90A:TG_SPLIT: 0
	.text
	.p2alignl 6, 3212836864
	.fill 256, 4, 3212836864
	.type	__hip_cuid_e3827e881f27e046,@object ; @__hip_cuid_e3827e881f27e046
	.section	.bss,"aw",@nobits
	.globl	__hip_cuid_e3827e881f27e046
__hip_cuid_e3827e881f27e046:
	.byte	0                               ; 0x0
	.size	__hip_cuid_e3827e881f27e046, 1

	.ident	"AMD clang version 19.0.0git (https://github.com/RadeonOpenCompute/llvm-project roc-6.4.0 25133 c7fe45cf4b819c5991fe208aaa96edf142730f1d)"
	.section	".note.GNU-stack","",@progbits
	.addrsig
	.addrsig_sym __hip_cuid_e3827e881f27e046
	.amdgpu_metadata
---
amdhsa.kernels:
  - .agpr_count:     0
    .args:
      - .actual_access:  read_only
        .address_space:  global
        .offset:         0
        .size:           8
        .value_kind:     global_buffer
      - .offset:         8
        .size:           8
        .value_kind:     by_value
      - .actual_access:  read_only
        .address_space:  global
        .offset:         16
        .size:           8
        .value_kind:     global_buffer
      - .actual_access:  read_only
        .address_space:  global
        .offset:         24
        .size:           8
        .value_kind:     global_buffer
      - .actual_access:  read_only
        .address_space:  global
        .offset:         32
        .size:           8
        .value_kind:     global_buffer
      - .offset:         40
        .size:           8
        .value_kind:     by_value
      - .actual_access:  read_only
        .address_space:  global
        .offset:         48
        .size:           8
        .value_kind:     global_buffer
      - .actual_access:  read_only
        .address_space:  global
        .offset:         56
        .size:           8
        .value_kind:     global_buffer
      - .offset:         64
        .size:           4
        .value_kind:     by_value
      - .actual_access:  read_only
        .address_space:  global
        .offset:         72
        .size:           8
        .value_kind:     global_buffer
      - .actual_access:  read_only
        .address_space:  global
        .offset:         80
        .size:           8
        .value_kind:     global_buffer
      - .actual_access:  read_only
        .address_space:  global
        .offset:         88
        .size:           8
        .value_kind:     global_buffer
      - .actual_access:  write_only
        .address_space:  global
        .offset:         96
        .size:           8
        .value_kind:     global_buffer
    .group_segment_fixed_size: 0
    .kernarg_segment_align: 8
    .kernarg_segment_size: 104
    .language:       OpenCL C
    .language_version:
      - 2
      - 0
    .max_flat_workgroup_size: 240
    .name:           fft_rtc_fwd_len1920_factors_10_6_16_2_wgs_240_tpt_120_halfLds_sp_op_CI_CI_unitstride_sbrr_C2R_dirReg
    .private_segment_fixed_size: 0
    .sgpr_count:     34
    .sgpr_spill_count: 0
    .symbol:         fft_rtc_fwd_len1920_factors_10_6_16_2_wgs_240_tpt_120_halfLds_sp_op_CI_CI_unitstride_sbrr_C2R_dirReg.kd
    .uniform_work_group_size: 1
    .uses_dynamic_stack: false
    .vgpr_count:     92
    .vgpr_spill_count: 0
    .wavefront_size: 64
amdhsa.target:   amdgcn-amd-amdhsa--gfx950
amdhsa.version:
  - 1
  - 2
...

	.end_amdgpu_metadata
